;; amdgpu-corpus repo=ROCm/rocFFT kind=compiled arch=gfx1030 opt=O3
	.text
	.amdgcn_target "amdgcn-amd-amdhsa--gfx1030"
	.amdhsa_code_object_version 6
	.protected	fft_rtc_back_len169_factors_13_13_wgs_156_tpt_13_dp_op_CI_CI_sbcc_twdbase8_2step_dirReg_intrinsicRead ; -- Begin function fft_rtc_back_len169_factors_13_13_wgs_156_tpt_13_dp_op_CI_CI_sbcc_twdbase8_2step_dirReg_intrinsicRead
	.globl	fft_rtc_back_len169_factors_13_13_wgs_156_tpt_13_dp_op_CI_CI_sbcc_twdbase8_2step_dirReg_intrinsicRead
	.p2align	8
	.type	fft_rtc_back_len169_factors_13_13_wgs_156_tpt_13_dp_op_CI_CI_sbcc_twdbase8_2step_dirReg_intrinsicRead,@function
fft_rtc_back_len169_factors_13_13_wgs_156_tpt_13_dp_op_CI_CI_sbcc_twdbase8_2step_dirReg_intrinsicRead: ; @fft_rtc_back_len169_factors_13_13_wgs_156_tpt_13_dp_op_CI_CI_sbcc_twdbase8_2step_dirReg_intrinsicRead
; %bb.0:
	s_clause 0x1
	s_load_dwordx4 s[20:23], s[4:5], 0x18
	s_load_dwordx2 s[24:25], s[4:5], 0x28
	s_mov_b64 s[62:63], s[2:3]
	s_mov_b64 s[60:61], s[0:1]
	v_mov_b32_e32 v2, v0
	s_add_u32 s60, s60, s7
	s_addc_u32 s61, s61, 0
	s_mov_b64 s[28:29], 0
	s_waitcnt lgkmcnt(0)
	s_load_dwordx2 s[30:31], s[20:21], 0x8
	s_waitcnt lgkmcnt(0)
	s_add_u32 s0, s30, -1
	s_addc_u32 s1, s31, -1
	s_add_u32 s2, 0, 0x55540000
	s_addc_u32 s3, 0, 0x55
	s_mul_hi_u32 s8, s2, -12
	s_add_i32 s3, s3, 0x15555500
	s_sub_i32 s8, s8, s2
	s_mul_i32 s10, s3, -12
	s_mul_i32 s7, s2, -12
	s_add_i32 s8, s8, s10
	s_mul_hi_u32 s9, s2, s7
	s_mul_i32 s12, s2, s8
	s_mul_hi_u32 s10, s2, s8
	s_mul_hi_u32 s11, s3, s7
	s_mul_i32 s7, s3, s7
	s_add_u32 s9, s9, s12
	s_addc_u32 s10, 0, s10
	s_mul_hi_u32 s13, s3, s8
	s_add_u32 s7, s9, s7
	s_mul_i32 s8, s3, s8
	s_addc_u32 s7, s10, s11
	s_addc_u32 s9, s13, 0
	s_add_u32 s7, s7, s8
	v_add_co_u32 v0, s2, s2, s7
	s_addc_u32 s7, 0, s9
	s_cmp_lg_u32 s2, 0
	s_addc_u32 s2, s3, s7
	v_readfirstlane_b32 s3, v0
	s_mul_i32 s8, s0, s2
	s_mul_hi_u32 s7, s0, s2
	s_mul_hi_u32 s9, s1, s2
	s_mul_i32 s2, s1, s2
	s_mul_hi_u32 s10, s0, s3
	s_mul_hi_u32 s11, s1, s3
	s_mul_i32 s3, s1, s3
	s_add_u32 s8, s10, s8
	s_addc_u32 s7, 0, s7
	s_add_u32 s3, s8, s3
	s_addc_u32 s3, s7, s11
	s_addc_u32 s7, s9, 0
	s_add_u32 s2, s3, s2
	s_addc_u32 s3, 0, s7
	s_mul_i32 s8, s2, 12
	s_add_u32 s7, s2, 1
	v_sub_co_u32 v0, s0, s0, s8
	s_mul_hi_u32 s8, s2, 12
	s_addc_u32 s9, s3, 0
	s_mul_i32 s10, s3, 12
	v_sub_co_u32 v1, s11, v0, 12
	s_add_u32 s12, s2, 2
	s_addc_u32 s13, s3, 0
	s_add_i32 s8, s8, s10
	s_cmp_lg_u32 s0, 0
	v_readfirstlane_b32 s0, v1
	s_subb_u32 s1, s1, s8
	s_cmp_lg_u32 s11, 0
	s_subb_u32 s8, s1, 0
	s_cmp_gt_u32 s0, 11
	s_cselect_b32 s0, -1, 0
	s_cmp_eq_u32 s8, 0
	v_readfirstlane_b32 s8, v0
	s_cselect_b32 s0, s0, -1
	s_cmp_lg_u32 s0, 0
	s_cselect_b32 s0, s12, s7
	s_cselect_b32 s9, s13, s9
	s_cmp_gt_u32 s8, 11
	s_cselect_b32 s7, -1, 0
	s_cmp_eq_u32 s1, 0
	s_cselect_b32 s1, s7, -1
	s_mov_b32 s7, 0
	s_cmp_lg_u32 s1, 0
	s_cselect_b32 s0, s0, s2
	s_cselect_b32 s1, s9, s3
	s_add_u32 s34, s0, 1
	s_addc_u32 s35, s1, 0
	v_cmp_lt_u64_e64 s0, s[6:7], s[34:35]
	s_and_b32 vcc_lo, exec_lo, s0
	s_cbranch_vccnz .LBB0_2
; %bb.1:
	v_cvt_f32_u32_e32 v0, s34
	s_sub_i32 s1, 0, s34
	s_mov_b32 s29, s7
	v_rcp_iflag_f32_e32 v0, v0
	v_mul_f32_e32 v0, 0x4f7ffffe, v0
	v_cvt_u32_f32_e32 v0, v0
	v_readfirstlane_b32 s0, v0
	s_mul_i32 s1, s1, s0
	s_mul_hi_u32 s1, s0, s1
	s_add_i32 s0, s0, s1
	s_mul_hi_u32 s0, s6, s0
	s_mul_i32 s1, s0, s34
	s_add_i32 s2, s0, 1
	s_sub_i32 s1, s6, s1
	s_sub_i32 s3, s1, s34
	s_cmp_ge_u32 s1, s34
	s_cselect_b32 s0, s2, s0
	s_cselect_b32 s1, s3, s1
	s_add_i32 s2, s0, 1
	s_cmp_ge_u32 s1, s34
	s_cselect_b32 s28, s2, s0
.LBB0_2:
	s_load_dwordx4 s[16:19], s[22:23], 0x0
	s_load_dwordx4 s[0:3], s[24:25], 0x0
	s_clause 0x1
	s_load_dwordx4 s[12:15], s[4:5], 0x8
	s_load_dwordx2 s[54:55], s[4:5], 0x0
	s_mul_i32 s8, s28, s35
	s_mul_hi_u32 s9, s28, s34
	s_mul_i32 s10, s28, s34
	s_add_i32 s9, s9, s8
	s_sub_u32 s33, s6, s10
	s_subb_u32 s8, 0, s9
	s_waitcnt lgkmcnt(0)
	s_mul_hi_u32 s17, s33, 12
	s_mul_i32 s26, s8, 12
	s_load_dwordx4 s[8:11], s[4:5], 0x60
	s_add_i32 s17, s17, s26
	s_mul_i32 s33, s33, 12
	s_mul_i32 s4, s18, s17
	s_mul_hi_u32 s5, s18, s33
	v_cmp_lt_u64_e64 s37, s[14:15], 3
	s_mul_i32 s26, s2, s17
	s_mul_hi_u32 s27, s2, s33
	s_mul_i32 s19, s19, s33
	s_mul_i32 s36, s3, s33
	s_add_i32 s4, s5, s4
	s_add_i32 s5, s27, s26
	;; [unrolled: 1-line block ×3, first 2 shown]
	s_mul_i32 s19, s18, s33
	s_add_i32 s27, s5, s36
	s_and_b32 vcc_lo, exec_lo, s37
	s_mul_i32 s26, s2, s33
	s_cbranch_vccnz .LBB0_12
; %bb.3:
	s_add_u32 s4, s24, 16
	s_addc_u32 s5, s25, 0
	s_add_u32 s36, s22, 16
	s_addc_u32 s37, s23, 0
	;; [unrolled: 2-line block ×3, first 2 shown]
	s_mov_b64 s[38:39], 2
	s_mov_b32 s40, 0
.LBB0_4:                                ; =>This Inner Loop Header: Depth=1
	s_load_dwordx2 s[42:43], s[20:21], 0x0
	s_waitcnt lgkmcnt(0)
	s_or_b64 s[44:45], s[28:29], s[42:43]
	s_mov_b32 s41, s45
                                        ; implicit-def: $sgpr44_sgpr45
	s_cmp_lg_u64 s[40:41], 0
	s_mov_b32 s41, -1
	s_cbranch_scc0 .LBB0_6
; %bb.5:                                ;   in Loop: Header=BB0_4 Depth=1
	v_cvt_f32_u32_e32 v0, s42
	v_cvt_f32_u32_e32 v1, s43
	s_sub_u32 s45, 0, s42
	s_subb_u32 s47, 0, s43
	v_fmac_f32_e32 v0, 0x4f800000, v1
	v_rcp_f32_e32 v0, v0
	v_mul_f32_e32 v0, 0x5f7ffffc, v0
	v_mul_f32_e32 v1, 0x2f800000, v0
	v_trunc_f32_e32 v1, v1
	v_fmac_f32_e32 v0, 0xcf800000, v1
	v_cvt_u32_f32_e32 v1, v1
	v_cvt_u32_f32_e32 v0, v0
	v_readfirstlane_b32 s41, v1
	v_readfirstlane_b32 s44, v0
	s_mul_i32 s48, s45, s41
	s_mul_hi_u32 s50, s45, s44
	s_mul_i32 s49, s47, s44
	s_add_i32 s48, s50, s48
	s_mul_i32 s51, s45, s44
	s_add_i32 s48, s48, s49
	s_mul_hi_u32 s50, s44, s51
	s_mul_hi_u32 s52, s41, s51
	s_mul_i32 s49, s41, s51
	s_mul_hi_u32 s51, s44, s48
	s_mul_i32 s44, s44, s48
	s_mul_hi_u32 s53, s41, s48
	s_add_u32 s44, s50, s44
	s_addc_u32 s50, 0, s51
	s_add_u32 s44, s44, s49
	s_mul_i32 s48, s41, s48
	s_addc_u32 s44, s50, s52
	s_addc_u32 s49, s53, 0
	s_add_u32 s44, s44, s48
	s_addc_u32 s48, 0, s49
	v_add_co_u32 v0, s44, v0, s44
	s_cmp_lg_u32 s44, 0
	s_addc_u32 s41, s41, s48
	v_readfirstlane_b32 s44, v0
	s_mul_i32 s48, s45, s41
	s_mul_hi_u32 s49, s45, s44
	s_mul_i32 s47, s47, s44
	s_add_i32 s48, s49, s48
	s_mul_i32 s45, s45, s44
	s_add_i32 s48, s48, s47
	s_mul_hi_u32 s49, s41, s45
	s_mul_i32 s50, s41, s45
	s_mul_hi_u32 s45, s44, s45
	s_mul_hi_u32 s51, s44, s48
	s_mul_i32 s44, s44, s48
	s_mul_hi_u32 s47, s41, s48
	s_add_u32 s44, s45, s44
	s_addc_u32 s45, 0, s51
	s_add_u32 s44, s44, s50
	s_mul_i32 s48, s41, s48
	s_addc_u32 s44, s45, s49
	s_addc_u32 s45, s47, 0
	s_add_u32 s44, s44, s48
	s_addc_u32 s45, 0, s45
	v_add_co_u32 v0, s44, v0, s44
	s_cmp_lg_u32 s44, 0
	s_addc_u32 s41, s41, s45
	v_readfirstlane_b32 s44, v0
	s_mul_i32 s47, s28, s41
	s_mul_hi_u32 s45, s28, s41
	s_mul_hi_u32 s48, s29, s41
	s_mul_i32 s41, s29, s41
	s_mul_hi_u32 s49, s28, s44
	s_mul_hi_u32 s50, s29, s44
	s_mul_i32 s44, s29, s44
	s_add_u32 s47, s49, s47
	s_addc_u32 s45, 0, s45
	s_add_u32 s44, s47, s44
	s_addc_u32 s44, s45, s50
	s_addc_u32 s45, s48, 0
	s_add_u32 s44, s44, s41
	s_addc_u32 s45, 0, s45
	s_mul_hi_u32 s41, s42, s44
	s_mul_i32 s48, s42, s45
	s_mul_i32 s49, s42, s44
	s_add_i32 s41, s41, s48
	v_sub_co_u32 v0, s48, s28, s49
	s_mul_i32 s47, s43, s44
	s_add_i32 s41, s41, s47
	v_sub_co_u32 v1, s49, v0, s42
	s_sub_i32 s47, s29, s41
	s_cmp_lg_u32 s48, 0
	s_subb_u32 s47, s47, s43
	s_cmp_lg_u32 s49, 0
	v_readfirstlane_b32 s49, v1
	s_subb_u32 s47, s47, 0
	s_cmp_ge_u32 s47, s43
	s_cselect_b32 s50, -1, 0
	s_cmp_ge_u32 s49, s42
	s_cselect_b32 s49, -1, 0
	s_cmp_eq_u32 s47, s43
	s_cselect_b32 s47, s49, s50
	s_add_u32 s49, s44, 1
	s_addc_u32 s50, s45, 0
	s_add_u32 s51, s44, 2
	s_addc_u32 s52, s45, 0
	s_cmp_lg_u32 s47, 0
	s_cselect_b32 s47, s51, s49
	s_cselect_b32 s49, s52, s50
	s_cmp_lg_u32 s48, 0
	v_readfirstlane_b32 s48, v0
	s_subb_u32 s41, s29, s41
	s_cmp_ge_u32 s41, s43
	s_cselect_b32 s50, -1, 0
	s_cmp_ge_u32 s48, s42
	s_cselect_b32 s48, -1, 0
	s_cmp_eq_u32 s41, s43
	s_cselect_b32 s41, s48, s50
	s_cmp_lg_u32 s41, 0
	s_mov_b32 s41, 0
	s_cselect_b32 s45, s49, s45
	s_cselect_b32 s44, s47, s44
.LBB0_6:                                ;   in Loop: Header=BB0_4 Depth=1
	s_andn2_b32 vcc_lo, exec_lo, s41
	s_cbranch_vccnz .LBB0_8
; %bb.7:                                ;   in Loop: Header=BB0_4 Depth=1
	v_cvt_f32_u32_e32 v0, s42
	s_sub_i32 s44, 0, s42
	v_rcp_iflag_f32_e32 v0, v0
	v_mul_f32_e32 v0, 0x4f7ffffe, v0
	v_cvt_u32_f32_e32 v0, v0
	v_readfirstlane_b32 s41, v0
	s_mul_i32 s44, s44, s41
	s_mul_hi_u32 s44, s41, s44
	s_add_i32 s41, s41, s44
	s_mul_hi_u32 s41, s28, s41
	s_mul_i32 s44, s41, s42
	s_add_i32 s45, s41, 1
	s_sub_i32 s44, s28, s44
	s_sub_i32 s47, s44, s42
	s_cmp_ge_u32 s44, s42
	s_cselect_b32 s41, s45, s41
	s_cselect_b32 s44, s47, s44
	s_add_i32 s45, s41, 1
	s_cmp_ge_u32 s44, s42
	s_cselect_b32 s44, s45, s41
	s_mov_b32 s45, s40
.LBB0_8:                                ;   in Loop: Header=BB0_4 Depth=1
	s_load_dwordx2 s[48:49], s[36:37], 0x0
	s_load_dwordx2 s[50:51], s[4:5], 0x0
	s_mul_i32 s35, s42, s35
	s_mul_hi_u32 s41, s42, s34
	s_mul_i32 s47, s43, s34
	s_mul_i32 s43, s44, s43
	s_mul_hi_u32 s52, s44, s42
	s_mul_i32 s53, s45, s42
	s_add_i32 s35, s41, s35
	s_add_i32 s41, s52, s43
	s_mul_i32 s56, s44, s42
	s_add_i32 s35, s35, s47
	s_add_i32 s41, s41, s53
	s_sub_u32 s28, s28, s56
	s_subb_u32 s29, s29, s41
	s_mul_i32 s34, s42, s34
	s_waitcnt lgkmcnt(0)
	s_mul_i32 s41, s48, s29
	s_mul_hi_u32 s43, s48, s28
	s_mul_i32 s47, s49, s28
	s_add_i32 s41, s43, s41
	s_mul_i32 s48, s48, s28
	s_mul_i32 s29, s50, s29
	s_mul_hi_u32 s43, s50, s28
	s_add_i32 s41, s41, s47
	s_add_u32 s19, s48, s19
	s_addc_u32 s46, s41, s46
	s_add_i32 s29, s43, s29
	s_mul_i32 s41, s51, s28
	s_mul_i32 s28, s50, s28
	s_add_i32 s29, s29, s41
	s_add_u32 s26, s28, s26
	s_addc_u32 s27, s29, s27
	s_add_u32 s38, s38, 1
	s_addc_u32 s39, s39, 0
	s_add_u32 s4, s4, 8
	v_cmp_ge_u64_e64 s28, s[38:39], s[14:15]
	s_addc_u32 s5, s5, 0
	s_add_u32 s36, s36, 8
	s_addc_u32 s37, s37, 0
	s_add_u32 s20, s20, 8
	s_addc_u32 s21, s21, 0
	s_and_b32 vcc_lo, exec_lo, s28
	s_cbranch_vccnz .LBB0_10
; %bb.9:                                ;   in Loop: Header=BB0_4 Depth=1
	s_mov_b64 s[28:29], s[44:45]
	s_branch .LBB0_4
.LBB0_10:
	v_cmp_lt_u64_e64 s4, s[6:7], s[34:35]
	s_mov_b64 s[28:29], 0
	s_and_b32 vcc_lo, exec_lo, s4
	s_cbranch_vccnz .LBB0_12
; %bb.11:
	v_cvt_f32_u32_e32 v0, s34
	s_sub_i32 s5, 0, s34
	v_rcp_iflag_f32_e32 v0, v0
	v_mul_f32_e32 v0, 0x4f7ffffe, v0
	v_cvt_u32_f32_e32 v0, v0
	v_readfirstlane_b32 s4, v0
	s_mul_i32 s5, s5, s4
	s_mul_hi_u32 s5, s4, s5
	s_add_i32 s4, s4, s5
	s_mul_hi_u32 s4, s6, s4
	s_mul_i32 s5, s4, s34
	s_sub_i32 s5, s6, s5
	s_add_i32 s6, s4, 1
	s_sub_i32 s7, s5, s34
	s_cmp_ge_u32 s5, s34
	s_cselect_b32 s4, s6, s4
	s_cselect_b32 s5, s7, s5
	s_add_i32 s6, s4, 1
	s_cmp_ge_u32 s5, s34
	s_cselect_b32 s28, s6, s4
.LBB0_12:
	v_mul_u32_u24_e32 v0, 0x1556, v2
	s_lshl_b64 s[14:15], s[14:15], 3
	buffer_store_dword v2, off, s[60:63], 0 offset:284 ; 4-byte Folded Spill
	s_add_u32 s4, s22, s14
	s_addc_u32 s5, s23, s15
	v_lshrrev_b32_e32 v37, 16, v0
	s_load_dword s20, s[4:5], 0x0
	s_waitcnt lgkmcnt(0)
	s_mov_b32 s5, s9
	s_mov_b32 s4, s8
	;; [unrolled: 1-line block ×3, first 2 shown]
	v_mul_lo_u16 v0, v37, 12
	v_mul_lo_u32 v1, s16, v37
	v_add_nc_u32_e32 v4, 39, v37
	v_add_nc_u32_e32 v3, 26, v37
	s_mov_b32 s6, -2
	v_sub_nc_u16 v0, v2, v0
	v_add_nc_u32_e32 v2, 13, v37
	v_mul_lo_u32 v4, s16, v4
	v_add_nc_u32_e32 v5, 52, v37
	v_add_nc_u32_e32 v12, 0x5b, v37
	v_and_b32_e32 v6, 0xffff, v0
	v_mul_lo_u32 v2, s16, v2
	v_add_nc_u32_e32 v0, 0x41, v37
	v_mul_lo_u32 v5, s16, v5
	v_mul_lo_u32 v12, s16, v12
	v_add_co_u32 v7, s9, s33, v6
	buffer_store_dword v6, off, s[60:63], 0 ; 4-byte Folded Spill
	v_mul_lo_u32 v9, s18, v6
	s_mul_i32 s8, s20, s28
	v_mov_b32_e32 v6, v7
	v_add_co_ci_u32_e64 v8, null, s17, 0, s9
	s_add_i32 s18, s8, s19
	s_add_u32 s8, s33, 12
	buffer_store_dword v6, off, s[60:63], 0 offset:288 ; 4-byte Folded Spill
	buffer_store_dword v7, off, s[60:63], 0 offset:292 ; 4-byte Folded Spill
	s_addc_u32 s9, s17, 0
	v_add_lshl_u32 v1, v9, v1, 4
	v_cmp_le_u64_e64 s8, s[8:9], s[30:31]
	v_add_lshl_u32 v2, v9, v2, 4
	v_add_lshl_u32 v10, v9, v4, 4
	v_add_nc_u32_e32 v6, 0x4e, v37
	v_mul_lo_u32 v0, s16, v0
	v_add_lshl_u32 v5, v9, v5, 4
	v_add_nc_u32_e32 v14, 0x8f, v37
	v_add_lshl_u32 v12, v9, v12, 4
	v_mul_lo_u32 v13, s16, v6
	s_mov_b32 s42, 0x42a4c3d2
	s_mov_b32 s43, 0xbfea55e2
	v_mul_lo_u32 v14, s16, v14
	v_add_lshl_u32 v6, v9, v0, 4
	v_add_nc_u32_e32 v0, 0x9c, v37
	s_mov_b32 s46, 0x66966769
	s_mov_b32 s39, 0x3fea55e2
	;; [unrolled: 1-line block ×4, first 2 shown]
	v_mul_lo_u32 v0, s16, v0
	s_mov_b32 s20, 0xebaa3ed8
	s_mov_b32 s21, 0x3fbedb7d
	;; [unrolled: 1-line block ×7, first 2 shown]
	v_add_lshl_u32 v0, v9, v0, 4
	s_mov_b32 s50, s22
	s_mov_b32 s36, 0x4bc48dbf
	;; [unrolled: 1-line block ×10, first 2 shown]
	v_cmp_gt_u64_e32 vcc_lo, s[30:31], v[7:8]
	v_mul_lo_u32 v7, s16, v3
	s_mov_b32 s30, 0x24c2f84
	s_mov_b32 s31, 0xbfe5384d
	;; [unrolled: 1-line block ×3, first 2 shown]
	s_or_b32 vcc_lo, s8, vcc_lo
	s_lshl_b32 s8, s18, 4
	v_cndmask_b32_e32 v1, -1, v1, vcc_lo
	v_cndmask_b32_e32 v8, -1, v2, vcc_lo
	v_add_lshl_u32 v11, v9, v7, 4
	v_cndmask_b32_e32 v5, -1, v5, vcc_lo
	v_add_lshl_u32 v7, v9, v13, 4
	s_clause 0x1
	buffer_load_dwordx4 v[1:4], v1, s[4:7], s8 offen
	buffer_load_dwordx4 v[25:28], v8, s[4:7], s8 offen
	v_add_nc_u32_e32 v8, 0x75, v37
	v_add_nc_u32_e32 v13, 0x68, v37
	buffer_load_dwordx4 v[55:58], v5, s[4:7], s8 offen
	v_cndmask_b32_e32 v0, -1, v0, vcc_lo
	v_cndmask_b32_e32 v12, -1, v12, vcc_lo
	v_mul_lo_u32 v8, s16, v8
	v_cndmask_b32_e32 v10, -1, v10, vcc_lo
	s_mov_b32 s18, 0xb2365da1
	s_mov_b32 s19, 0xbfd6b1d8
	v_add_lshl_u32 v8, v9, v8, 4
	v_cndmask_b32_e32 v8, -1, v8, vcc_lo
	buffer_load_dwordx4 v[17:20], v8, s[4:7], s8 offen
	v_cndmask_b32_e32 v5, -1, v6, vcc_lo
	v_cndmask_b32_e32 v6, -1, v7, vcc_lo
	v_mul_lo_u32 v7, s16, v13
	v_add_nc_u32_e32 v13, 0x82, v37
	s_clause 0x2
	buffer_load_dwordx4 v[222:225], v0, s[4:7], s8 offen
	buffer_load_dwordx4 v[33:36], v6, s[4:7], s8 offen
	;; [unrolled: 1-line block ×3, first 2 shown]
	v_add_lshl_u32 v0, v9, v14, 4
	v_cndmask_b32_e32 v6, -1, v11, vcc_lo
	v_mul_lo_u32 v13, s16, v13
	s_mov_b32 s16, 0xd0032e0c
	v_add_lshl_u32 v7, v9, v7, 4
	v_cndmask_b32_e32 v0, -1, v0, vcc_lo
	s_mov_b32 s17, 0xbfe7f3cc
	v_cndmask_b32_e32 v7, -1, v7, vcc_lo
	v_add_lshl_u32 v8, v9, v13, 4
	s_clause 0x1
	buffer_load_dwordx4 v[59:62], v5, s[4:7], s8 offen
	buffer_load_dwordx4 v[21:24], v7, s[4:7], s8 offen
	v_cndmask_b32_e32 v5, -1, v8, vcc_lo
	s_clause 0x3
	buffer_load_dwordx4 v[63:66], v10, s[4:7], s8 offen
	buffer_load_dwordx4 v[13:16], v5, s[4:7], s8 offen
	;; [unrolled: 1-line block ×4, first 2 shown]
	s_mov_b32 s4, 0x1ea71119
	s_mov_b32 s5, 0x3fe22d96
	;; [unrolled: 1-line block ×6, first 2 shown]
	s_waitcnt vmcnt(11)
	v_add_f64 v[71:72], v[1:2], v[25:26]
	v_add_f64 v[73:74], v[3:4], v[27:28]
	s_waitcnt vmcnt(9)
	v_add_f64 v[77:78], v[57:58], -v[19:20]
	v_add_f64 v[52:53], v[55:56], v[17:18]
	v_add_f64 v[75:76], v[57:58], v[19:20]
	v_add_f64 v[50:51], v[55:56], -v[17:18]
	s_waitcnt vmcnt(8)
	v_add_f64 v[79:80], v[27:28], -v[224:225]
	v_add_f64 v[81:82], v[27:28], v[224:225]
	v_add_f64 v[101:102], v[25:26], v[222:223]
	v_add_f64 v[25:26], v[25:26], -v[222:223]
	s_waitcnt vmcnt(6)
	v_add_f64 v[42:43], v[33:34], v[29:30]
	v_add_f64 v[130:131], v[35:36], v[31:32]
	v_add_f64 v[38:39], v[33:34], -v[29:30]
	v_add_f64 v[126:127], v[35:36], -v[31:32]
	s_waitcnt vmcnt(4)
	v_add_f64 v[83:84], v[61:62], -v[23:24]
	v_add_f64 v[48:49], v[59:60], v[21:22]
	v_mul_f64 v[128:129], v[77:78], s[22:23]
	v_mul_f64 v[142:143], v[77:78], s[48:49]
	s_waitcnt vmcnt(2)
	v_add_f64 v[93:94], v[65:66], -v[15:16]
	v_add_f64 v[85:86], v[63:64], v[13:14]
	s_waitcnt vmcnt(0)
	v_add_f64 v[89:90], v[69:70], -v[212:213]
	v_add_f64 v[97:98], v[67:68], v[210:211]
	v_add_f64 v[91:92], v[69:70], v[212:213]
	v_add_f64 v[99:100], v[67:68], -v[210:211]
	v_add_f64 v[87:88], v[65:66], v[15:16]
	v_add_f64 v[95:96], v[63:64], -v[13:14]
	v_mul_f64 v[5:6], v[75:76], s[18:19]
	v_mul_f64 v[144:145], v[75:76], s[16:17]
	;; [unrolled: 1-line block ×5, first 2 shown]
	v_add_f64 v[67:68], v[71:72], v[67:68]
	v_add_f64 v[69:70], v[73:74], v[69:70]
	v_mul_f64 v[172:173], v[75:76], s[20:21]
	v_mul_f64 v[71:72], v[79:80], s[52:53]
	;; [unrolled: 1-line block ×20, first 2 shown]
	v_add_f64 v[63:64], v[67:68], v[63:64]
	v_add_f64 v[65:66], v[69:70], v[65:66]
	v_mul_f64 v[112:113], v[81:82], s[4:5]
	v_mul_f64 v[114:115], v[81:82], s[20:21]
	;; [unrolled: 1-line block ×5, first 2 shown]
	v_add_f64 v[46:47], v[61:62], v[23:24]
	v_mul_f64 v[9:10], v[83:84], s[30:31]
	v_mul_f64 v[136:137], v[91:92], s[18:19]
	;; [unrolled: 1-line block ×3, first 2 shown]
	v_fma_f64 v[11:12], v[97:98], s[4:5], v[120:121]
	v_mul_f64 v[150:151], v[91:92], s[6:7]
	v_mul_f64 v[162:163], v[89:90], s[48:49]
	;; [unrolled: 1-line block ×10, first 2 shown]
	v_add_f64 v[55:56], v[63:64], v[55:56]
	v_add_f64 v[57:58], v[65:66], v[57:58]
	v_mul_f64 v[91:92], v[91:92], s[8:9]
	v_mul_f64 v[93:94], v[93:94], s[30:31]
	;; [unrolled: 1-line block ×3, first 2 shown]
	v_fma_f64 v[67:68], v[101:102], s[8:9], v[71:72]
	buffer_store_dword v11, off, s[60:63], 0 offset:228 ; 4-byte Folded Spill
	buffer_store_dword v12, off, s[60:63], 0 offset:232 ; 4-byte Folded Spill
	v_fma_f64 v[11:12], v[99:100], s[38:39], v[122:123]
	v_fma_f64 v[69:70], v[101:102], s[8:9], -v[71:72]
	v_fma_f64 v[71:72], v[101:102], s[4:5], v[73:74]
	v_fma_f64 v[73:74], v[101:102], s[4:5], -v[73:74]
	;; [unrolled: 2-line block ×6, first 2 shown]
	v_fma_f64 v[101:102], v[25:26], s[40:41], v[110:111]
	v_fma_f64 v[110:111], v[25:26], s[52:53], v[110:111]
	;; [unrolled: 1-line block ×5, first 2 shown]
	buffer_store_dword v11, off, s[60:63], 0 offset:236 ; 4-byte Folded Spill
	buffer_store_dword v12, off, s[60:63], 0 offset:240 ; 4-byte Folded Spill
	v_fma_f64 v[11:12], v[85:86], s[20:21], v[124:125]
	v_fma_f64 v[114:115], v[25:26], s[46:47], v[114:115]
	;; [unrolled: 1-line block ×8, first 2 shown]
	v_add_f64 v[55:56], v[55:56], v[59:60]
	v_add_f64 v[57:58], v[57:58], v[61:62]
	v_add_f64 v[27:28], v[59:60], -v[21:22]
	v_mul_f64 v[160:161], v[83:84], s[42:43]
	v_mul_f64 v[174:175], v[83:84], s[44:45]
	;; [unrolled: 1-line block ×6, first 2 shown]
	buffer_store_dword v11, off, s[60:63], 0 offset:132 ; 4-byte Folded Spill
	buffer_store_dword v12, off, s[60:63], 0 offset:136 ; 4-byte Folded Spill
	v_fma_f64 v[11:12], v[95:96], s[34:35], v[7:8]
	v_fma_f64 v[246:247], v[99:100], s[50:51], v[136:137]
	v_fma_f64 v[236:237], v[97:98], s[18:19], -v[134:135]
	v_fma_f64 v[240:241], v[99:100], s[22:23], v[136:137]
	v_fma_f64 v[228:229], v[97:98], s[6:7], v[148:149]
	v_fma_f64 v[230:231], v[99:100], s[44:45], v[150:151]
	v_fma_f64 v[220:221], v[97:98], s[6:7], -v[148:149]
	v_fma_f64 v[218:219], v[99:100], s[36:37], v[150:151]
	;; [unrolled: 4-line block ×3, first 2 shown]
	v_fma_f64 v[242:243], v[85:86], s[8:9], -v[166:167]
	v_fma_f64 v[244:245], v[95:96], s[40:41], v[168:169]
	v_fma_f64 v[248:249], v[97:98], s[20:21], v[176:177]
	v_add_f64 v[33:34], v[55:56], v[33:34]
	v_add_f64 v[35:36], v[57:58], v[35:36]
	buffer_store_dword v11, off, s[60:63], 0 offset:140 ; 4-byte Folded Spill
	buffer_store_dword v12, off, s[60:63], 0 offset:144 ; 4-byte Folded Spill
	v_fma_f64 v[11:12], v[52:53], s[18:19], v[128:129]
	v_fma_f64 v[226:227], v[85:86], s[4:5], v[180:181]
	v_add_f64 v[136:137], v[1:2], v[71:72]
	v_add_f64 v[198:199], v[3:4], v[198:199]
	;; [unrolled: 1-line block ×12, first 2 shown]
	v_fma_f64 v[234:235], v[52:53], s[6:7], v[184:185]
	v_fma_f64 v[232:233], v[50:51], s[36:37], v[186:187]
	v_fma_f64 v[115:116], v[97:98], s[20:21], -v[176:177]
	buffer_store_dword v11, off, s[60:63], 0 offset:36 ; 4-byte Folded Spill
	buffer_store_dword v12, off, s[60:63], 0 offset:40 ; 4-byte Folded Spill
	v_fma_f64 v[11:12], v[50:51], s[50:51], v[5:6]
	v_fma_f64 v[176:177], v[99:100], s[34:35], v[178:179]
	;; [unrolled: 1-line block ×3, first 2 shown]
	v_add_f64 v[162:163], v[33:34], v[29:30]
	v_add_f64 v[164:165], v[35:36], v[31:32]
	v_fma_f64 v[250:251], v[48:49], s[6:7], v[174:175]
	v_fma_f64 v[174:175], v[48:49], s[6:7], -v[174:175]
	v_fma_f64 v[252:253], v[48:49], s[8:9], v[188:189]
	v_fma_f64 v[188:189], v[48:49], s[8:9], -v[188:189]
	;; [unrolled: 2-line block ×3, first 2 shown]
	v_add_f64 v[148:149], v[218:219], v[148:149]
	v_add_f64 v[150:151], v[214:215], v[150:151]
	;; [unrolled: 1-line block ×5, first 2 shown]
	buffer_store_dword v11, off, s[60:63], 0 offset:52 ; 4-byte Folded Spill
	buffer_store_dword v12, off, s[60:63], 0 offset:56 ; 4-byte Folded Spill
	v_fma_f64 v[11:12], v[97:98], s[18:19], v[134:135]
	v_add_f64 v[134:135], v[3:4], v[25:26]
	v_add_f64 v[21:22], v[162:163], v[21:22]
	;; [unrolled: 1-line block ×3, first 2 shown]
	buffer_store_dword v11, off, s[60:63], 0 offset:276 ; 4-byte Folded Spill
	buffer_store_dword v12, off, s[60:63], 0 offset:280 ; 4-byte Folded Spill
	v_fma_f64 v[11:12], v[85:86], s[6:7], v[138:139]
	v_add_f64 v[17:18], v[21:22], v[17:18]
	v_add_f64 v[19:20], v[23:24], v[19:20]
	;; [unrolled: 1-line block ×3, first 2 shown]
	buffer_store_dword v11, off, s[60:63], 0 offset:180 ; 4-byte Folded Spill
	buffer_store_dword v12, off, s[60:63], 0 offset:184 ; 4-byte Folded Spill
	v_fma_f64 v[11:12], v[95:96], s[44:45], v[140:141]
	buffer_store_dword v11, off, s[60:63], 0 offset:188 ; 4-byte Folded Spill
	buffer_store_dword v12, off, s[60:63], 0 offset:192 ; 4-byte Folded Spill
	v_fma_f64 v[11:12], v[52:53], s[16:17], v[142:143]
	;; [unrolled: 3-line block ×4, first 2 shown]
	buffer_store_dword v11, off, s[60:63], 0 offset:4 ; 4-byte Folded Spill
	buffer_store_dword v12, off, s[60:63], 0 offset:8 ; 4-byte Folded Spill
	v_fma_f64 v[11:12], v[85:86], s[6:7], -v[138:139]
	v_add_f64 v[138:139], v[1:2], v[103:104]
	buffer_store_dword v11, off, s[60:63], 0 offset:196 ; 4-byte Folded Spill
	buffer_store_dword v12, off, s[60:63], 0 offset:200 ; 4-byte Folded Spill
	v_fma_f64 v[11:12], v[95:96], s[36:37], v[140:141]
	v_add_f64 v[140:141], v[1:2], v[106:107]
	v_add_f64 v[138:139], v[220:221], v[138:139]
	buffer_store_dword v11, off, s[60:63], 0 offset:204 ; 4-byte Folded Spill
	buffer_store_dword v12, off, s[60:63], 0 offset:208 ; 4-byte Folded Spill
	v_fma_f64 v[11:12], v[52:53], s[16:17], -v[142:143]
	v_add_f64 v[142:143], v[1:2], v[108:109]
	v_fma_f64 v[107:108], v[52:53], s[4:5], v[77:78]
	v_add_f64 v[140:141], v[208:209], v[140:141]
	buffer_store_dword v11, off, s[60:63], 0 offset:84 ; 4-byte Folded Spill
	buffer_store_dword v12, off, s[60:63], 0 offset:88 ; 4-byte Folded Spill
	v_fma_f64 v[11:12], v[50:51], s[48:49], v[144:145]
	v_add_f64 v[144:145], v[1:2], v[73:74]
	v_add_f64 v[115:116], v[115:116], v[142:143]
	;; [unrolled: 1-line block ×3, first 2 shown]
	buffer_store_dword v11, off, s[60:63], 0 offset:92 ; 4-byte Folded Spill
	buffer_store_dword v12, off, s[60:63], 0 offset:96 ; 4-byte Folded Spill
	v_fma_f64 v[11:12], v[48:49], s[20:21], -v[146:147]
	v_add_f64 v[146:147], v[3:4], v[112:113]
	v_fma_f64 v[113:114], v[48:49], s[4:5], v[160:161]
	v_fma_f64 v[160:161], v[48:49], s[4:5], -v[160:161]
	v_add_f64 v[144:145], v[236:237], v[144:145]
	buffer_store_dword v11, off, s[60:63], 0 offset:20 ; 4-byte Folded Spill
	buffer_store_dword v12, off, s[60:63], 0 offset:24 ; 4-byte Folded Spill
	v_fma_f64 v[11:12], v[85:86], s[18:19], v[152:153]
	v_add_f64 v[146:147], v[240:241], v[146:147]
	buffer_store_dword v11, off, s[60:63], 0 offset:212 ; 4-byte Folded Spill
	buffer_store_dword v12, off, s[60:63], 0 offset:216 ; 4-byte Folded Spill
	v_fma_f64 v[11:12], v[95:96], s[22:23], v[154:155]
	buffer_store_dword v11, off, s[60:63], 0 offset:220 ; 4-byte Folded Spill
	buffer_store_dword v12, off, s[60:63], 0 offset:224 ; 4-byte Folded Spill
	v_fma_f64 v[11:12], v[52:53], s[8:9], v[156:157]
	;; [unrolled: 3-line block ×3, first 2 shown]
	buffer_store_dword v11, off, s[60:63], 0 offset:108 ; 4-byte Folded Spill
	buffer_store_dword v12, off, s[60:63], 0 offset:112 ; 4-byte Folded Spill
	v_fma_f64 v[11:12], v[85:86], s[18:19], -v[152:153]
	v_add_f64 v[152:153], v[3:4], v[118:119]
	v_fma_f64 v[117:118], v[48:49], s[16:17], -v[9:10]
	buffer_store_dword v11, off, s[60:63], 0 offset:244 ; 4-byte Folded Spill
	buffer_store_dword v12, off, s[60:63], 0 offset:248 ; 4-byte Folded Spill
	v_fma_f64 v[11:12], v[95:96], s[50:51], v[154:155]
	v_add_f64 v[154:155], v[1:2], v[79:80]
	v_fma_f64 v[79:80], v[50:51], s[38:39], v[75:76]
	v_add_f64 v[142:143], v[176:177], v[152:153]
	v_add_f64 v[176:177], v[226:227], v[194:195]
	buffer_store_dword v11, off, s[60:63], 0 offset:252 ; 4-byte Folded Spill
	buffer_store_dword v12, off, s[60:63], 0 offset:256 ; 4-byte Folded Spill
	v_fma_f64 v[11:12], v[52:53], s[8:9], -v[156:157]
	v_add_f64 v[156:157], v[1:2], v[67:68]
	buffer_store_dword v11, off, s[60:63], 0 offset:116 ; 4-byte Folded Spill
	buffer_store_dword v12, off, s[60:63], 0 offset:120 ; 4-byte Folded Spill
	v_fma_f64 v[11:12], v[50:51], s[40:41], v[158:159]
	v_add_f64 v[158:159], v[3:4], v[101:102]
	v_fma_f64 v[101:102], v[50:51], s[22:23], v[5:6]
	buffer_store_dword v11, off, s[60:63], 0 offset:124 ; 4-byte Folded Spill
	buffer_store_dword v12, off, s[60:63], 0 offset:128 ; 4-byte Folded Spill
	v_fma_f64 v[11:12], v[85:86], s[8:9], v[166:167]
	v_fma_f64 v[166:167], v[95:96], s[38:39], v[182:183]
	buffer_store_dword v11, off, s[60:63], 0 offset:260 ; 4-byte Folded Spill
	buffer_store_dword v12, off, s[60:63], 0 offset:264 ; 4-byte Folded Spill
	v_fma_f64 v[11:12], v[95:96], s[52:53], v[168:169]
	v_fma_f64 v[168:169], v[99:100], s[46:47], v[178:179]
	v_fma_f64 v[178:179], v[85:86], s[4:5], -v[180:181]
	v_fma_f64 v[180:181], v[95:96], s[42:43], v[182:183]
	v_fma_f64 v[182:183], v[52:53], s[6:7], -v[184:185]
	v_fma_f64 v[184:185], v[50:51], s[44:45], v[186:187]
	v_fma_f64 v[186:187], v[97:98], s[8:9], v[89:90]
	v_fma_f64 v[89:90], v[97:98], s[8:9], -v[89:90]
	v_fma_f64 v[97:98], v[97:98], s[4:5], -v[120:121]
	v_fma_f64 v[120:121], v[99:100], s[52:53], v[91:92]
	v_fma_f64 v[91:92], v[99:100], s[40:41], v[91:92]
	;; [unrolled: 1-line block ×4, first 2 shown]
	v_fma_f64 v[93:94], v[85:86], s[16:17], -v[93:94]
	v_fma_f64 v[85:86], v[85:86], s[20:21], -v[124:125]
	v_fma_f64 v[124:125], v[95:96], s[48:49], v[87:88]
	v_fma_f64 v[87:88], v[95:96], s[30:31], v[87:88]
	buffer_store_dword v11, off, s[60:63], 0 offset:268 ; 4-byte Folded Spill
	buffer_store_dword v12, off, s[60:63], 0 offset:272 ; 4-byte Folded Spill
	v_fma_f64 v[11:12], v[52:53], s[20:21], v[170:171]
	v_fma_f64 v[95:96], v[95:96], s[46:47], v[7:8]
	v_mul_f64 v[6:7], v[46:47], s[8:9]
	v_mul_f64 v[8:9], v[46:47], s[18:19]
	v_add_f64 v[168:169], v[168:169], v[204:205]
	v_add_f64 v[152:153], v[186:187], v[196:197]
	;; [unrolled: 1-line block ×7, first 2 shown]
	buffer_store_dword v11, off, s[60:63], 0 offset:148 ; 4-byte Folded Spill
	buffer_store_dword v12, off, s[60:63], 0 offset:152 ; 4-byte Folded Spill
	v_fma_f64 v[11:12], v[50:51], s[34:35], v[172:173]
	v_fma_f64 v[60:61], v[27:28], s[52:53], v[6:7]
	;; [unrolled: 1-line block ×4, first 2 shown]
	v_mul_f64 v[6:7], v[126:127], s[34:35]
	v_add_f64 v[89:90], v[93:94], v[89:90]
	v_add_f64 v[121:122], v[122:123], v[152:153]
	;; [unrolled: 1-line block ×7, first 2 shown]
	buffer_store_dword v11, off, s[60:63], 0 offset:156 ; 4-byte Folded Spill
	buffer_store_dword v12, off, s[60:63], 0 offset:160 ; 4-byte Folded Spill
	v_fma_f64 v[11:12], v[52:53], s[20:21], -v[170:171]
	v_add_f64 v[170:171], v[3:4], v[110:111]
	v_mul_f64 v[4:5], v[46:47], s[6:7]
	v_fma_f64 v[111:112], v[52:53], s[4:5], -v[77:78]
	v_fma_f64 v[109:110], v[52:53], s[18:19], -v[128:129]
	v_fma_f64 v[128:129], v[50:51], s[42:43], v[75:76]
	v_fma_f64 v[83:84], v[42:43], s[20:21], v[6:7]
	v_fma_f64 v[105:106], v[42:43], s[20:21], -v[6:7]
	v_mul_f64 v[6:7], v[130:131], s[20:21]
	v_add_f64 v[79:80], v[79:80], v[87:88]
	v_add_f64 v[107:108], v[107:108], v[121:122]
	;; [unrolled: 1-line block ×3, first 2 shown]
	buffer_store_dword v11, off, s[60:63], 0 offset:164 ; 4-byte Folded Spill
	buffer_store_dword v12, off, s[60:63], 0 offset:168 ; 4-byte Folded Spill
	v_fma_f64 v[11:12], v[50:51], s[46:47], v[172:173]
	v_add_f64 v[172:173], v[1:2], v[69:70]
	v_mul_f64 v[0:1], v[46:47], s[20:21]
	v_mul_f64 v[2:3], v[46:47], s[4:5]
	;; [unrolled: 1-line block ×3, first 2 shown]
	v_fma_f64 v[52:53], v[27:28], s[36:37], v[4:5]
	v_fma_f64 v[54:55], v[27:28], s[44:45], v[4:5]
	v_fma_f64 v[70:71], v[27:28], s[22:23], v[8:9]
	v_mul_f64 v[4:5], v[126:127], s[22:23]
	v_add_f64 v[99:100], v[99:100], v[170:171]
	v_add_f64 v[119:120], v[128:129], v[119:120]
	;; [unrolled: 1-line block ×4, first 2 shown]
	buffer_store_dword v11, off, s[60:63], 0 offset:172 ; 4-byte Folded Spill
	buffer_store_dword v12, off, s[60:63], 0 offset:176 ; 4-byte Folded Spill
	v_add_f64 v[97:98], v[97:98], v[172:173]
	v_fma_f64 v[33:34], v[27:28], s[46:47], v[0:1]
	v_fma_f64 v[35:36], v[27:28], s[34:35], v[0:1]
	;; [unrolled: 1-line block ×6, first 2 shown]
	v_mul_f64 v[46:47], v[126:127], s[40:41]
	v_mul_f64 v[0:1], v[126:127], s[30:31]
	v_mul_f64 v[2:3], v[126:127], s[38:39]
	v_mul_f64 v[126:127], v[126:127], s[36:37]
	v_fma_f64 v[81:82], v[42:43], s[18:19], v[4:5]
	v_fma_f64 v[103:104], v[42:43], s[18:19], -v[4:5]
	v_mul_f64 v[4:5], v[130:131], s[18:19]
	v_add_f64 v[91:92], v[95:96], v[99:100]
	v_add_f64 v[64:65], v[64:65], v[119:120]
	v_add_f64 v[89:90], v[132:133], v[89:90]
	v_add_f64 v[70:71], v[70:71], v[79:80]
	v_add_f64 v[85:86], v[85:86], v[97:98]
	v_fma_f64 v[56:57], v[42:43], s[8:9], v[46:47]
	v_fma_f64 v[46:47], v[42:43], s[8:9], -v[46:47]
	v_fma_f64 v[68:69], v[42:43], s[16:17], v[0:1]
	v_fma_f64 v[72:73], v[42:43], s[16:17], -v[0:1]
	;; [unrolled: 2-line block ×4, first 2 shown]
	v_mul_f64 v[42:43], v[130:131], s[8:9]
	v_mul_f64 v[0:1], v[130:131], s[16:17]
	;; [unrolled: 1-line block ×4, first 2 shown]
	v_fma_f64 v[40:41], v[38:39], s[50:51], v[4:5]
	v_fma_f64 v[44:45], v[38:39], s[22:23], v[4:5]
	;; [unrolled: 1-line block ×4, first 2 shown]
	v_add_f64 v[87:88], v[101:102], v[91:92]
	v_add_f64 v[85:86], v[109:110], v[85:86]
	v_fma_f64 v[10:11], v[38:39], s[52:53], v[42:43]
	v_fma_f64 v[42:43], v[38:39], s[40:41], v[42:43]
	;; [unrolled: 1-line block ×8, first 2 shown]
	s_clause 0x1
	buffer_load_dword v38, off, s[60:63], 0 offset:228
	buffer_load_dword v39, off, s[60:63], 0 offset:232
	v_add_f64 v[79:80], v[117:118], v[85:86]
	v_add_f64 v[66:67], v[66:67], v[87:88]
	;; [unrolled: 1-line block ×3, first 2 shown]
	s_waitcnt vmcnt(0)
	v_add_f64 v[38:39], v[38:39], v[156:157]
	s_clause 0x1
	buffer_load_dword v156, off, s[60:63], 0 offset:236
	buffer_load_dword v157, off, s[60:63], 0 offset:240
	s_waitcnt vmcnt(0)
	v_add_f64 v[156:157], v[156:157], v[158:159]
	s_clause 0x3
	buffer_load_dword v158, off, s[60:63], 0 offset:276
	buffer_load_dword v159, off, s[60:63], 0 offset:280
	;; [unrolled: 1-line block ×4, first 2 shown]
	s_waitcnt vmcnt(2)
	v_add_f64 v[136:137], v[158:159], v[136:137]
	s_waitcnt vmcnt(0)
	v_add_f64 v[38:39], v[134:135], v[38:39]
	s_clause 0x3
	buffer_load_dword v134, off, s[60:63], 0 offset:140
	buffer_load_dword v135, off, s[60:63], 0 offset:144
	;; [unrolled: 1-line block ×4, first 2 shown]
	v_add_f64 v[158:159], v[246:247], v[198:199]
	v_add_f64 v[198:199], v[230:231], v[200:201]
	;; [unrolled: 1-line block ×3, first 2 shown]
	s_waitcnt vmcnt(2)
	v_add_f64 v[134:135], v[134:135], v[156:157]
	s_waitcnt vmcnt(0)
	v_add_f64 v[136:137], v[154:155], v[136:137]
	s_clause 0x3
	buffer_load_dword v154, off, s[60:63], 0 offset:188
	buffer_load_dword v155, off, s[60:63], 0 offset:192
	;; [unrolled: 1-line block ×4, first 2 shown]
	s_waitcnt vmcnt(2)
	v_add_f64 v[154:155], v[154:155], v[158:159]
	s_waitcnt vmcnt(0)
	v_add_f64 v[144:145], v[156:157], v[144:145]
	s_clause 0x1
	buffer_load_dword v156, off, s[60:63], 0 offset:204
	buffer_load_dword v157, off, s[60:63], 0 offset:208
	s_waitcnt vmcnt(0)
	v_add_f64 v[146:147], v[156:157], v[146:147]
	s_clause 0x5
	buffer_load_dword v156, off, s[60:63], 0 offset:212
	buffer_load_dword v157, off, s[60:63], 0 offset:216
	;; [unrolled: 1-line block ×6, first 2 shown]
	s_waitcnt vmcnt(4)
	v_add_f64 v[156:157], v[156:157], v[190:191]
	s_waitcnt vmcnt(2)
	v_add_f64 v[158:159], v[158:159], v[198:199]
	;; [unrolled: 2-line block ×3, first 2 shown]
	s_clause 0x1
	buffer_load_dword v170, off, s[60:63], 0 offset:252
	buffer_load_dword v171, off, s[60:63], 0 offset:256
	s_waitcnt vmcnt(0)
	v_add_f64 v[148:149], v[170:171], v[148:149]
	s_clause 0x5
	buffer_load_dword v170, off, s[60:63], 0 offset:260
	buffer_load_dword v171, off, s[60:63], 0 offset:264
	;; [unrolled: 1-line block ×6, first 2 shown]
	s_waitcnt vmcnt(4)
	v_add_f64 v[170:171], v[170:171], v[192:193]
	s_waitcnt vmcnt(2)
	v_add_f64 v[172:173], v[172:173], v[200:201]
	;; [unrolled: 2-line block ×3, first 2 shown]
	s_clause 0x9
	buffer_load_dword v93, off, s[60:63], 0 offset:52
	buffer_load_dword v94, off, s[60:63], 0 offset:56
	;; [unrolled: 1-line block ×10, first 2 shown]
	v_add_f64 v[38:39], v[58:59], v[38:39]
	s_waitcnt vmcnt(8)
	v_add_f64 v[93:94], v[93:94], v[134:135]
	s_waitcnt vmcnt(6)
	v_add_f64 v[95:96], v[95:96], v[136:137]
	s_clause 0x1
	buffer_load_dword v134, off, s[60:63], 0 offset:100
	buffer_load_dword v135, off, s[60:63], 0 offset:104
	s_waitcnt vmcnt(4)
	v_add_f64 v[99:100], v[99:100], v[144:145]
	s_clause 0x3
	buffer_load_dword v136, off, s[60:63], 0 offset:108
	buffer_load_dword v137, off, s[60:63], 0 offset:112
	;; [unrolled: 1-line block ×4, first 2 shown]
	s_waitcnt vmcnt(6)
	v_add_f64 v[123:124], v[123:124], v[146:147]
	v_add_f64 v[97:98], v[97:98], v[154:155]
	;; [unrolled: 1-line block ×10, first 2 shown]
	s_waitcnt vmcnt(4)
	v_add_f64 v[134:135], v[134:135], v[156:157]
	s_waitcnt vmcnt(2)
	v_add_f64 v[136:137], v[136:137], v[158:159]
	;; [unrolled: 2-line block ×3, first 2 shown]
	s_clause 0x3
	buffer_load_dword v144, off, s[60:63], 0 offset:124
	buffer_load_dword v145, off, s[60:63], 0 offset:128
	;; [unrolled: 1-line block ×4, first 2 shown]
	v_add_f64 v[93:94], v[113:114], v[134:135]
	v_add_f64 v[113:114], v[188:189], v[115:116]
	;; [unrolled: 1-line block ×4, first 2 shown]
	s_waitcnt vmcnt(2)
	v_add_f64 v[144:145], v[144:145], v[148:149]
	s_clause 0x9
	buffer_load_dword v148, off, s[60:63], 0 offset:156
	buffer_load_dword v149, off, s[60:63], 0 offset:160
	;; [unrolled: 1-line block ×10, first 2 shown]
	s_waitcnt vmcnt(10)
	v_add_f64 v[146:147], v[146:147], v[170:171]
	v_add_f64 v[50:51], v[50:51], v[144:145]
	v_add_f64 v[101:102], v[250:251], v[146:147]
	v_add_f64 v[27:28], v[27:28], v[50:51]
	v_add_f64 v[50:51], v[105:106], v[89:90]
	s_waitcnt vmcnt(8)
	v_add_f64 v[148:149], v[148:149], v[172:173]
	s_waitcnt vmcnt(6)
	v_add_f64 v[21:22], v[21:22], v[140:141]
	;; [unrolled: 2-line block ×4, first 2 shown]
	v_add_f64 v[95:96], v[17:18], v[13:14]
	v_add_f64 v[140:141], v[234:235], v[176:177]
	;; [unrolled: 1-line block ×3, first 2 shown]
	s_waitcnt vmcnt(0)
	v_add_f64 v[91:92], v[91:92], v[99:100]
	v_add_f64 v[99:100], v[160:161], v[138:139]
	;; [unrolled: 1-line block ×24, first 2 shown]
	buffer_load_dword v0, off, s[60:63], 0  ; 4-byte Folded Reload
	v_add_f64 v[38:39], v[81:82], v[111:112]
	v_add_f64 v[40:41], v[40:41], v[60:61]
	;; [unrolled: 1-line block ×3, first 2 shown]
	v_mad_u32_u24 v1, 0x9c0, v37, 0
	s_waitcnt vmcnt(0)
	v_mov_b32_e32 v6, v0
	v_lshl_add_u32 v0, v0, 4, v1
	ds_write_b128 v0, v[13:16] offset:192
	ds_write_b128 v0, v[17:20] offset:384
	;; [unrolled: 1-line block ×12, first 2 shown]
	ds_write_b128 v0, v[2:5]
	s_waitcnt lgkmcnt(0)
	s_waitcnt_vscnt null, 0x0
	s_barrier
	buffer_gl0_inv
	s_and_saveexec_b32 s29, vcc_lo
	s_cbranch_execz .LBB0_14
; %bb.13:
	v_mul_lo_u16 v0, v37, 20
	v_lshlrev_b32_e32 v6, 4, v6
	v_lshrrev_b16 v0, 8, v0
	v_mul_lo_u16 v0, v0, 13
	v_sub_nc_u16 v0, v37, v0
	v_and_b32_e32 v255, 0xff, v0
	v_mul_u32_u24_e32 v0, 12, v255
	v_lshlrev_b32_e32 v45, 4, v0
	v_mul_i32_i24_e32 v0, 0xfffff700, v37
	s_clause 0x7
	global_load_dwordx4 v[2:5], v45, s[54:55] offset:80
	global_load_dwordx4 v[21:24], v45, s[54:55] offset:96
	;; [unrolled: 1-line block ×8, first 2 shown]
	v_add3_u32 v38, v1, v0, v6
	ds_read_b128 v[39:42], v38 offset:14976
	ds_read_b128 v[49:52], v38 offset:17472
	global_load_dwordx4 v[13:16], v45, s[54:55] offset:16
	s_waitcnt vmcnt(8) lgkmcnt(1)
	v_mul_f64 v[0:1], v[41:42], v[4:5]
	v_mul_f64 v[43:44], v[39:40], v[4:5]
	ds_read_b128 v[4:7], v38 offset:12480
	s_waitcnt vmcnt(7) lgkmcnt(1)
	v_mul_f64 v[57:58], v[51:52], v[23:24]
	v_mul_f64 v[23:24], v[49:50], v[23:24]
	ds_read_b128 v[53:56], v38 offset:19968
	ds_read_b128 v[61:64], v38 offset:9984
	ds_read_b128 v[73:76], v38 offset:22464
	global_load_dwordx4 v[17:20], v45, s[54:55] offset:160
	v_fma_f64 v[77:78], v[39:40], v[2:3], v[0:1]
	v_fma_f64 v[79:80], v[41:42], v[2:3], -v[43:44]
	s_waitcnt vmcnt(7) lgkmcnt(3)
	v_mul_f64 v[0:1], v[6:7], v[27:28]
	v_mul_f64 v[2:3], v[4:5], v[27:28]
	v_fma_f64 v[41:42], v[49:50], v[21:22], v[57:58]
	v_fma_f64 v[57:58], v[51:52], v[21:22], -v[23:24]
	s_waitcnt vmcnt(6) lgkmcnt(2)
	v_mul_f64 v[21:22], v[55:56], v[31:32]
	v_mul_f64 v[23:24], v[53:54], v[31:32]
	s_waitcnt vmcnt(5) lgkmcnt(1)
	v_mul_f64 v[31:32], v[61:62], v[35:36]
	v_mul_f64 v[27:28], v[63:64], v[35:36]
	v_fma_f64 v[105:106], v[4:5], v[25:26], v[0:1]
	v_fma_f64 v[165:166], v[6:7], v[25:26], -v[2:3]
	global_load_dwordx4 v[1:4], v45, s[54:55]
	ds_read_b128 v[5:8], v38 offset:7488
	v_fma_f64 v[53:54], v[53:54], v[29:30], v[21:22]
	v_fma_f64 v[59:60], v[55:56], v[29:30], -v[23:24]
	ds_read_b128 v[21:24], v38 offset:4992
	v_fma_f64 v[50:51], v[63:64], v[33:34], -v[31:32]
	ds_read_b128 v[29:32], v38 offset:24960
	s_waitcnt vmcnt(5) lgkmcnt(3)
	v_mul_f64 v[25:26], v[75:76], v[67:68]
	v_mul_f64 v[35:36], v[73:74], v[67:68]
	v_fma_f64 v[48:49], v[61:62], v[33:34], v[27:28]
	v_add_f64 v[175:176], v[79:80], -v[57:58]
	v_add_f64 v[183:184], v[79:80], v[57:58]
	s_waitcnt vmcnt(4) lgkmcnt(2)
	v_mul_f64 v[39:40], v[7:8], v[71:72]
	v_mul_f64 v[67:68], v[5:6], v[71:72]
	s_waitcnt vmcnt(3) lgkmcnt(0)
	v_mul_f64 v[33:34], v[31:32], v[11:12]
	v_mul_f64 v[11:12], v[29:30], v[11:12]
	v_fma_f64 v[61:62], v[73:74], v[65:66], v[25:26]
	v_fma_f64 v[46:47], v[75:76], v[65:66], -v[35:36]
	ds_read_b128 v[25:28], v38 offset:27456
	v_mul_f64 v[179:180], v[175:176], s[36:37]
	v_mul_f64 v[207:208], v[175:176], s[40:41]
	;; [unrolled: 1-line block ×3, first 2 shown]
	v_fma_f64 v[63:64], v[5:6], v[69:70], v[39:40]
	v_fma_f64 v[67:68], v[7:8], v[69:70], -v[67:68]
	global_load_dwordx4 v[5:8], v45, s[54:55] offset:176
	s_clause 0x1
	buffer_load_dword v35, off, s[60:63], 0 offset:288
	buffer_load_dword v36, off, s[60:63], 0 offset:292
	v_mov_b32_e32 v39, 4
	v_fma_f64 v[65:66], v[29:30], v[9:10], v[33:34]
	v_fma_f64 v[69:70], v[31:32], v[9:10], -v[11:12]
	s_waitcnt vmcnt(5)
	v_mul_f64 v[33:34], v[23:24], v[15:16]
	v_mul_f64 v[15:16], v[21:22], v[15:16]
	v_fma_f64 v[75:76], v[21:22], v[13:14], v[33:34]
	v_fma_f64 v[83:84], v[23:24], v[13:14], -v[15:16]
	s_waitcnt vmcnt(4) lgkmcnt(0)
	v_mul_f64 v[21:22], v[27:28], v[19:20]
	v_mul_f64 v[19:20], v[25:26], v[19:20]
	v_fma_f64 v[71:72], v[25:26], v[17:18], v[21:22]
	v_fma_f64 v[73:74], v[27:28], v[17:18], -v[19:20]
	s_waitcnt vmcnt(1)
	v_mov_b32_e32 v40, v35
	v_mul_lo_u32 v0, v40, v255
	v_bfe_u32 v35, v0, 8, 8
	v_lshlrev_b32_sdwa v0, v39, v0 dst_sel:DWORD dst_unused:UNUSED_PAD src0_sel:DWORD src1_sel:BYTE_0
	v_lshl_or_b32 v35, v35, 4, 0x1000
	s_clause 0x1
	global_load_dwordx4 v[9:12], v0, s[12:13]
	global_load_dwordx4 v[29:32], v35, s[12:13]
	ds_read_b128 v[13:16], v38 offset:2496
	s_waitcnt vmcnt(2)
	ds_read_b128 v[33:36], v38
	s_waitcnt lgkmcnt(1)
	v_mul_f64 v[17:18], v[15:16], v[3:4]
	v_mul_f64 v[3:4], v[13:14], v[3:4]
	v_fma_f64 v[99:100], v[13:14], v[1:2], v[17:18]
	v_fma_f64 v[101:102], v[15:16], v[1:2], -v[3:4]
	ds_read_b128 v[1:4], v38 offset:29952
	s_waitcnt lgkmcnt(0)
	v_mul_f64 v[13:14], v[3:4], v[7:8]
	v_mul_f64 v[7:8], v[1:2], v[7:8]
	v_fma_f64 v[89:90], v[1:2], v[5:6], v[13:14]
	v_add_nc_u32_e32 v2, 0x9c, v255
	v_fma_f64 v[91:92], v[3:4], v[5:6], -v[7:8]
	v_mul_lo_u32 v2, v40, v2
	v_bfe_u32 v3, v2, 8, 8
	v_lshlrev_b32_sdwa v2, v39, v2 dst_sel:DWORD dst_unused:UNUSED_PAD src0_sel:DWORD src1_sel:BYTE_0
	v_lshl_or_b32 v5, v3, 4, 0x1000
	v_add_f64 v[129:130], v[99:100], v[89:90]
	v_add_f64 v[117:118], v[101:102], v[91:92]
	v_add_f64 v[127:128], v[101:102], -v[91:92]
	v_mul_f64 v[131:132], v[127:128], s[52:53]
	v_mul_f64 v[191:192], v[127:128], s[42:43]
	;; [unrolled: 1-line block ×4, first 2 shown]
	s_waitcnt vmcnt(0)
	v_mul_f64 v[15:16], v[11:12], v[31:32]
	v_mul_f64 v[0:1], v[9:10], v[31:32]
	v_fma_f64 v[3:4], v[9:10], v[29:30], -v[15:16]
	v_fma_f64 v[0:1], v[11:12], v[29:30], v[0:1]
	buffer_store_dword v3, off, s[60:63], 0 offset:76 ; 4-byte Folded Spill
	buffer_store_dword v4, off, s[60:63], 0 offset:80 ; 4-byte Folded Spill
	;; [unrolled: 1-line block ×4, first 2 shown]
	s_clause 0x1
	global_load_dwordx4 v[1:4], v2, s[12:13]
	global_load_dwordx4 v[5:8], v5, s[12:13]
	v_add_nc_u32_e32 v0, 0x8f, v255
	v_mul_lo_u32 v0, v40, v0
	v_bfe_u32 v11, v0, 8, 8
	v_lshlrev_b32_sdwa v0, v39, v0 dst_sel:DWORD dst_unused:UNUSED_PAD src0_sel:DWORD src1_sel:BYTE_0
	v_lshl_or_b32 v13, v11, 4, 0x1000
	s_waitcnt vmcnt(0)
	v_mul_f64 v[9:10], v[3:4], v[7:8]
	v_mul_f64 v[7:8], v[1:2], v[7:8]
	v_fma_f64 v[9:10], v[1:2], v[5:6], -v[9:10]
	v_fma_f64 v[11:12], v[3:4], v[5:6], v[7:8]
	s_clause 0x1
	global_load_dwordx4 v[1:4], v0, s[12:13]
	global_load_dwordx4 v[5:8], v13, s[12:13]
	s_waitcnt vmcnt(0)
	v_mul_f64 v[13:14], v[3:4], v[7:8]
	v_fma_f64 v[13:14], v[1:2], v[5:6], -v[13:14]
	v_mul_f64 v[0:1], v[1:2], v[7:8]
	v_fma_f64 v[15:16], v[3:4], v[5:6], v[0:1]
	v_add_nc_u32_e32 v0, 0x82, v255
	v_mul_lo_u32 v0, v40, v0
	v_bfe_u32 v1, v0, 8, 8
	v_lshlrev_b32_sdwa v0, v39, v0 dst_sel:DWORD dst_unused:UNUSED_PAD src0_sel:DWORD src1_sel:BYTE_0
	v_lshl_or_b32 v5, v1, 4, 0x1000
	s_clause 0x1
	global_load_dwordx4 v[1:4], v0, s[12:13]
	global_load_dwordx4 v[5:8], v5, s[12:13]
	s_waitcnt vmcnt(0)
	v_mul_f64 v[17:18], v[3:4], v[7:8]
	v_fma_f64 v[17:18], v[1:2], v[5:6], -v[17:18]
	v_mul_f64 v[0:1], v[1:2], v[7:8]
	v_fma_f64 v[19:20], v[3:4], v[5:6], v[0:1]
	v_add_nc_u32_e32 v0, 0x75, v255
	v_mul_lo_u32 v0, v40, v0
	v_bfe_u32 v1, v0, 8, 8
	v_lshlrev_b32_sdwa v0, v39, v0 dst_sel:DWORD dst_unused:UNUSED_PAD src0_sel:DWORD src1_sel:BYTE_0
	v_lshl_or_b32 v5, v1, 4, 0x1000
	;; [unrolled: 13-line block ×5, first 2 shown]
	s_clause 0x1
	global_load_dwordx4 v[1:4], v0, s[12:13]
	global_load_dwordx4 v[5:8], v5, s[12:13]
	s_waitcnt vmcnt(0)
	v_mul_f64 v[37:38], v[3:4], v[7:8]
	v_fma_f64 v[43:44], v[1:2], v[5:6], -v[37:38]
	v_mul_f64 v[0:1], v[1:2], v[7:8]
	v_mul_f64 v[37:38], v[175:176], s[38:39]
	v_fma_f64 v[107:108], v[3:4], v[5:6], v[0:1]
	v_add_nc_u32_e32 v0, 0x41, v255
	v_mul_lo_u32 v0, v40, v0
	v_bfe_u32 v1, v0, 8, 8
	v_lshlrev_b32_sdwa v0, v39, v0 dst_sel:DWORD dst_unused:UNUSED_PAD src0_sel:DWORD src1_sel:BYTE_0
	v_lshl_or_b32 v5, v1, 4, 0x1000
	s_clause 0x1
	global_load_dwordx4 v[1:4], v0, s[12:13]
	global_load_dwordx4 v[5:8], v5, s[12:13]
	s_waitcnt vmcnt(0)
	v_mul_f64 v[81:82], v[3:4], v[7:8]
	v_fma_f64 v[109:110], v[1:2], v[5:6], -v[81:82]
	v_mul_f64 v[0:1], v[1:2], v[7:8]
	v_fma_f64 v[111:112], v[3:4], v[5:6], v[0:1]
	v_add_nc_u32_e32 v0, 52, v255
	v_mul_lo_u32 v0, v40, v0
	v_bfe_u32 v1, v0, 8, 8
	v_lshlrev_b32_sdwa v0, v39, v0 dst_sel:DWORD dst_unused:UNUSED_PAD src0_sel:DWORD src1_sel:BYTE_0
	v_lshl_or_b32 v5, v1, 4, 0x1000
	s_clause 0x1
	global_load_dwordx4 v[1:4], v0, s[12:13]
	global_load_dwordx4 v[5:8], v5, s[12:13]
	s_waitcnt vmcnt(0)
	v_mul_f64 v[81:82], v[3:4], v[7:8]
	v_fma_f64 v[31:32], v[1:2], v[5:6], -v[81:82]
	v_mul_f64 v[0:1], v[1:2], v[7:8]
	buffer_store_dword v31, off, s[60:63], 0 offset:68 ; 4-byte Folded Spill
	buffer_store_dword v32, off, s[60:63], 0 offset:72 ; 4-byte Folded Spill
	v_fma_f64 v[81:82], v[3:4], v[5:6], v[0:1]
	v_add_nc_u32_e32 v0, 39, v255
	v_mul_lo_u32 v0, v40, v0
	v_bfe_u32 v1, v0, 8, 8
	v_lshlrev_b32_sdwa v0, v39, v0 dst_sel:DWORD dst_unused:UNUSED_PAD src0_sel:DWORD src1_sel:BYTE_0
	v_lshl_or_b32 v5, v1, 4, 0x1000
	s_clause 0x1
	global_load_dwordx4 v[1:4], v0, s[12:13]
	global_load_dwordx4 v[5:8], v5, s[12:13]
	s_waitcnt vmcnt(0)
	v_mul_f64 v[93:94], v[3:4], v[7:8]
	v_fma_f64 v[113:114], v[1:2], v[5:6], -v[93:94]
	v_mul_f64 v[0:1], v[1:2], v[7:8]
	v_fma_f64 v[115:116], v[3:4], v[5:6], v[0:1]
	v_add_nc_u32_e32 v0, 26, v255
	v_mul_lo_u32 v0, v40, v0
	v_bfe_u32 v1, v0, 8, 8
	v_lshlrev_b32_sdwa v0, v39, v0 dst_sel:DWORD dst_unused:UNUSED_PAD src0_sel:DWORD src1_sel:BYTE_0
	v_lshl_or_b32 v5, v1, 4, 0x1000
	s_clause 0x1
	global_load_dwordx4 v[1:4], v0, s[12:13]
	global_load_dwordx4 v[5:8], v5, s[12:13]
	s_waitcnt vmcnt(0)
	v_mul_f64 v[93:94], v[3:4], v[7:8]
	v_fma_f64 v[95:96], v[1:2], v[5:6], -v[93:94]
	v_mul_f64 v[0:1], v[1:2], v[7:8]
	v_fma_f64 v[103:104], v[3:4], v[5:6], v[0:1]
	v_add_nc_u32_e32 v0, 13, v255
	v_mul_lo_u32 v0, v40, v0
	v_lshlrev_b32_sdwa v1, v39, v0 dst_sel:DWORD dst_unused:UNUSED_PAD src0_sel:DWORD src1_sel:BYTE_0
	v_bfe_u32 v0, v0, 8, 8
	v_lshl_or_b32 v0, v0, 4, 0x1000
	s_clause 0x1
	global_load_dwordx4 v[1:4], v1, s[12:13]
	global_load_dwordx4 v[5:8], v0, s[12:13]
	buffer_store_dword v71, off, s[60:63], 0 offset:100 ; 4-byte Folded Spill
	buffer_store_dword v72, off, s[60:63], 0 offset:104 ; 4-byte Folded Spill
	;; [unrolled: 1-line block ×8, first 2 shown]
	v_add_f64 v[121:122], v[75:76], -v[71:72]
	s_waitcnt vmcnt(0)
	v_mul_f64 v[39:40], v[3:4], v[7:8]
	v_add_f64 v[123:124], v[83:84], v[73:74]
	v_add_f64 v[133:134], v[83:84], -v[73:74]
	v_add_f64 v[135:136], v[75:76], v[71:72]
	v_add_f64 v[139:140], v[63:64], -v[65:66]
	;; [unrolled: 2-line block ×3, first 2 shown]
	v_add_f64 v[147:148], v[63:64], v[65:66]
	v_mov_b32_e32 v66, v62
	v_mov_b32_e32 v65, v61
	v_mov_b32_e32 v72, v47
	v_mov_b32_e32 v71, v46
	v_mov_b32_e32 v45, v105
	v_mov_b32_e32 v46, v106
	v_add_f64 v[151:152], v[48:49], -v[65:66]
	v_add_f64 v[159:160], v[48:49], v[65:66]
	v_add_f64 v[153:154], v[50:51], v[71:72]
	v_add_f64 v[157:158], v[50:51], -v[71:72]
	v_add_f64 v[163:164], v[45:46], -v[53:54]
	v_mov_b32_e32 v73, v75
	v_mov_b32_e32 v74, v76
	v_mul_f64 v[125:126], v[121:122], s[42:43]
	v_fma_f64 v[93:94], v[1:2], v[5:6], -v[39:40]
	v_add_f64 v[39:40], v[99:100], -v[89:90]
	v_mul_f64 v[0:1], v[1:2], v[7:8]
	v_mul_f64 v[137:138], v[133:134], s[42:43]
	;; [unrolled: 1-line block ×3, first 2 shown]
	v_mov_b32_e32 v76, v49
	v_mul_f64 v[149:150], v[145:146], s[46:47]
	v_mov_b32_e32 v75, v48
	v_mov_b32_e32 v62, v60
	;; [unrolled: 1-line block ×5, first 2 shown]
	v_add_f64 v[171:172], v[45:46], v[53:54]
	v_mov_b32_e32 v70, v42
	v_mul_f64 v[155:156], v[151:152], s[22:23]
	v_mov_b32_e32 v69, v41
	v_add_f64 v[165:166], v[47:48], v[61:62]
	v_mul_f64 v[161:162], v[157:158], s[22:23]
	v_mul_f64 v[167:168], v[163:164], s[30:31]
	v_add_f64 v[169:170], v[47:48], -v[61:62]
	v_add_f64 v[177:178], v[77:78], v[69:70]
	v_add_f64 v[181:182], v[77:78], -v[69:70]
	v_mul_f64 v[189:190], v[121:122], s[22:23]
	v_mul_f64 v[119:120], v[39:40], s[52:53]
	v_fma_f64 v[97:98], v[3:4], v[5:6], v[0:1]
	v_fma_f64 v[2:3], v[123:124], s[4:5], v[125:126]
	v_fma_f64 v[4:5], v[135:136], s[4:5], -v[137:138]
	v_mul_f64 v[187:188], v[39:40], s[42:43]
	v_mul_f64 v[193:194], v[133:134], s[22:23]
	;; [unrolled: 1-line block ×18, first 2 shown]
	v_fma_f64 v[0:1], v[117:118], s[8:9], v[119:120]
	v_mul_f64 v[227:228], v[163:164], s[42:43]
	v_mul_f64 v[229:230], v[169:170], s[42:43]
	;; [unrolled: 1-line block ×14, first 2 shown]
	v_mov_b32_e32 v60, v54
	v_mov_b32_e32 v59, v53
	v_mul_f64 v[31:32], v[181:182], s[22:23]
	v_add_f64 v[0:1], v[35:36], v[0:1]
	v_add_f64 v[0:1], v[2:3], v[0:1]
	v_fma_f64 v[2:3], v[129:130], s[8:9], -v[131:132]
	v_add_f64 v[2:3], v[33:34], v[2:3]
	v_add_f64 v[2:3], v[4:5], v[2:3]
	v_fma_f64 v[4:5], v[141:142], s[20:21], v[143:144]
	v_add_f64 v[0:1], v[4:5], v[0:1]
	v_fma_f64 v[4:5], v[147:148], s[20:21], -v[149:150]
	v_add_f64 v[2:3], v[4:5], v[2:3]
	v_fma_f64 v[4:5], v[153:154], s[18:19], v[155:156]
	v_add_f64 v[0:1], v[4:5], v[0:1]
	v_fma_f64 v[4:5], v[159:160], s[18:19], -v[161:162]
	;; [unrolled: 4-line block ×3, first 2 shown]
	v_add_f64 v[2:3], v[4:5], v[2:3]
	v_fma_f64 v[4:5], v[177:178], s[6:7], -v[179:180]
	v_add_f64 v[5:6], v[4:5], v[2:3]
	v_fma_f64 v[2:3], v[183:184], s[6:7], v[185:186]
	v_add_f64 v[0:1], v[2:3], v[0:1]
	v_mul_f64 v[2:3], v[5:6], v[11:12]
	v_mul_f64 v[7:8], v[0:1], v[11:12]
	v_fma_f64 v[2:3], v[0:1], v[9:10], -v[2:3]
	v_fma_f64 v[0:1], v[5:6], v[9:10], v[7:8]
	v_fma_f64 v[5:6], v[117:118], s[4:5], v[187:188]
	;; [unrolled: 1-line block ×3, first 2 shown]
	v_fma_f64 v[9:10], v[135:136], s[18:19], -v[193:194]
	buffer_store_dword v0, off, s[60:63], 0 offset:4 ; 4-byte Folded Spill
	buffer_store_dword v1, off, s[60:63], 0 offset:8 ; 4-byte Folded Spill
	;; [unrolled: 1-line block ×4, first 2 shown]
	v_add_f64 v[5:6], v[35:36], v[5:6]
	v_add_f64 v[5:6], v[7:8], v[5:6]
	v_fma_f64 v[7:8], v[129:130], s[4:5], -v[191:192]
	v_add_f64 v[7:8], v[33:34], v[7:8]
	v_add_f64 v[7:8], v[9:10], v[7:8]
	v_fma_f64 v[9:10], v[141:142], s[6:7], v[195:196]
	v_add_f64 v[5:6], v[9:10], v[5:6]
	v_fma_f64 v[9:10], v[147:148], s[6:7], -v[197:198]
	v_add_f64 v[7:8], v[9:10], v[7:8]
	v_fma_f64 v[9:10], v[153:154], s[16:17], v[199:200]
	v_add_f64 v[5:6], v[9:10], v[5:6]
	v_fma_f64 v[9:10], v[159:160], s[16:17], -v[201:202]
	;; [unrolled: 4-line block ×3, first 2 shown]
	v_add_f64 v[7:8], v[9:10], v[7:8]
	v_fma_f64 v[9:10], v[177:178], s[8:9], -v[207:208]
	v_add_f64 v[9:10], v[9:10], v[7:8]
	v_fma_f64 v[7:8], v[183:184], s[8:9], v[209:210]
	v_add_f64 v[5:6], v[7:8], v[5:6]
	v_mul_f64 v[7:8], v[9:10], v[15:16]
	v_mul_f64 v[11:12], v[5:6], v[15:16]
	v_fma_f64 v[2:3], v[5:6], v[13:14], -v[7:8]
	v_fma_f64 v[6:7], v[183:184], s[4:5], v[41:42]
	v_fma_f64 v[0:1], v[9:10], v[13:14], v[11:12]
	;; [unrolled: 1-line block ×4, first 2 shown]
	v_fma_f64 v[13:14], v[135:136], s[6:7], -v[217:218]
	buffer_store_dword v0, off, s[60:63], 0 offset:20 ; 4-byte Folded Spill
	buffer_store_dword v1, off, s[60:63], 0 offset:24 ; 4-byte Folded Spill
	;; [unrolled: 1-line block ×4, first 2 shown]
	v_add_f64 v[9:10], v[35:36], v[9:10]
	v_add_f64 v[9:10], v[11:12], v[9:10]
	v_fma_f64 v[11:12], v[129:130], s[20:21], -v[215:216]
	v_add_f64 v[11:12], v[33:34], v[11:12]
	v_add_f64 v[11:12], v[13:14], v[11:12]
	v_fma_f64 v[13:14], v[141:142], s[18:19], v[219:220]
	v_add_f64 v[9:10], v[13:14], v[9:10]
	v_fma_f64 v[13:14], v[147:148], s[18:19], -v[221:222]
	v_add_f64 v[11:12], v[13:14], v[11:12]
	v_fma_f64 v[13:14], v[153:154], s[8:9], v[223:224]
	v_add_f64 v[9:10], v[13:14], v[9:10]
	v_fma_f64 v[13:14], v[159:160], s[8:9], -v[225:226]
	;; [unrolled: 4-line block ×3, first 2 shown]
	v_add_f64 v[11:12], v[13:14], v[11:12]
	v_fma_f64 v[13:14], v[177:178], s[16:17], -v[231:232]
	v_add_f64 v[13:14], v[13:14], v[11:12]
	v_fma_f64 v[11:12], v[183:184], s[16:17], v[233:234]
	v_add_f64 v[9:10], v[11:12], v[9:10]
	v_mul_f64 v[11:12], v[13:14], v[19:20]
	v_mul_f64 v[15:16], v[9:10], v[19:20]
	v_fma_f64 v[2:3], v[9:10], v[17:18], -v[11:12]
	v_mul_f64 v[19:20], v[127:128], s[30:31]
	v_mul_f64 v[8:9], v[145:146], s[42:43]
	v_fma_f64 v[0:1], v[13:14], v[17:18], v[15:16]
	v_fma_f64 v[13:14], v[117:118], s[18:19], v[235:236]
	;; [unrolled: 1-line block ×3, first 2 shown]
	v_fma_f64 v[17:18], v[135:136], s[16:17], -v[241:242]
	buffer_store_dword v0, off, s[60:63], 0 offset:36 ; 4-byte Folded Spill
	buffer_store_dword v1, off, s[60:63], 0 offset:40 ; 4-byte Folded Spill
	;; [unrolled: 1-line block ×4, first 2 shown]
	v_add_f64 v[13:14], v[35:36], v[13:14]
	v_fma_f64 v[2:3], v[177:178], s[4:5], -v[37:38]
	v_fma_f64 v[10:11], v[129:130], s[16:17], -v[19:20]
	v_mul_f64 v[0:1], v[169:170], s[40:41]
	v_add_f64 v[13:14], v[15:16], v[13:14]
	v_fma_f64 v[15:16], v[129:130], s[18:19], -v[239:240]
	v_add_f64 v[10:11], v[33:34], v[10:11]
	v_add_f64 v[15:16], v[33:34], v[15:16]
	;; [unrolled: 1-line block ×3, first 2 shown]
	v_fma_f64 v[17:18], v[141:142], s[8:9], v[243:244]
	v_add_f64 v[13:14], v[17:18], v[13:14]
	v_fma_f64 v[17:18], v[147:148], s[8:9], -v[245:246]
	v_add_f64 v[15:16], v[17:18], v[15:16]
	v_fma_f64 v[17:18], v[153:154], s[20:21], v[247:248]
	v_add_f64 v[13:14], v[17:18], v[13:14]
	v_fma_f64 v[17:18], v[159:160], s[20:21], -v[249:250]
	v_add_f64 v[15:16], v[17:18], v[15:16]
	;; [unrolled: 4-line block ×3, first 2 shown]
	v_add_f64 v[15:16], v[17:18], v[15:16]
	v_mul_f64 v[17:18], v[6:7], v[23:24]
	v_add_f64 v[2:3], v[2:3], v[15:16]
	v_mul_f64 v[13:14], v[2:3], v[23:24]
	v_mul_f64 v[23:24], v[39:40], s[30:31]
	v_fma_f64 v[2:3], v[2:3], v[21:22], v[17:18]
	v_fma_f64 v[17:18], v[123:124], s[20:21], v[105:106]
	v_fma_f64 v[4:5], v[6:7], v[21:22], -v[13:14]
	v_mul_f64 v[14:15], v[133:134], s[34:35]
	v_fma_f64 v[6:7], v[117:118], s[16:17], v[23:24]
	buffer_store_dword v2, off, s[60:63], 0 offset:52 ; 4-byte Folded Spill
	buffer_store_dword v3, off, s[60:63], 0 offset:56 ; 4-byte Folded Spill
	;; [unrolled: 1-line block ×4, first 2 shown]
	v_fma_f64 v[12:13], v[135:136], s[20:21], -v[14:15]
	v_add_f64 v[6:7], v[35:36], v[6:7]
	v_mul_f64 v[4:5], v[157:158], s[44:45]
	v_mul_f64 v[2:3], v[163:164], s[40:41]
	v_fma_f64 v[14:15], v[135:136], s[20:21], v[14:15]
	v_add_f64 v[10:11], v[12:13], v[10:11]
	v_mul_f64 v[12:13], v[139:140], s[42:43]
	v_add_f64 v[6:7], v[17:18], v[6:7]
	v_fma_f64 v[17:18], v[141:142], s[4:5], v[12:13]
	v_fma_f64 v[12:13], v[141:142], s[4:5], -v[12:13]
	v_add_f64 v[6:7], v[17:18], v[6:7]
	v_fma_f64 v[17:18], v[147:148], s[4:5], -v[8:9]
	v_fma_f64 v[8:9], v[147:148], s[4:5], v[8:9]
	v_add_f64 v[10:11], v[17:18], v[10:11]
	v_mul_f64 v[17:18], v[151:152], s[44:45]
	v_fma_f64 v[21:22], v[153:154], s[6:7], v[17:18]
	v_add_f64 v[6:7], v[21:22], v[6:7]
	v_fma_f64 v[21:22], v[159:160], s[6:7], -v[4:5]
	v_fma_f64 v[4:5], v[159:160], s[6:7], v[4:5]
	v_add_f64 v[10:11], v[21:22], v[10:11]
	v_fma_f64 v[21:22], v[165:166], s[8:9], v[2:3]
	v_fma_f64 v[2:3], v[165:166], s[8:9], -v[2:3]
	v_add_f64 v[6:7], v[21:22], v[6:7]
	v_fma_f64 v[21:22], v[171:172], s[8:9], -v[0:1]
	v_fma_f64 v[0:1], v[171:172], s[8:9], v[0:1]
	v_add_f64 v[10:11], v[21:22], v[10:11]
	v_mul_f64 v[21:22], v[175:176], s[22:23]
	v_fma_f64 v[53:54], v[177:178], s[18:19], -v[21:22]
	v_add_f64 v[10:11], v[53:54], v[10:11]
	v_fma_f64 v[53:54], v[183:184], s[18:19], v[31:32]
	v_add_f64 v[6:7], v[53:54], v[6:7]
	v_mul_f64 v[53:54], v[10:11], v[27:28]
	v_mul_f64 v[27:28], v[6:7], v[27:28]
	v_fma_f64 v[87:88], v[6:7], v[25:26], -v[53:54]
	v_mul_f64 v[6:7], v[39:40], s[36:37]
	v_mul_f64 v[39:40], v[133:134], s[40:41]
	v_fma_f64 v[85:86], v[10:11], v[25:26], v[27:28]
	v_mul_f64 v[10:11], v[121:122], s[40:41]
	v_fma_f64 v[25:26], v[117:118], s[6:7], v[6:7]
	v_fma_f64 v[121:122], v[135:136], s[8:9], -v[39:40]
	v_fma_f64 v[6:7], v[117:118], s[6:7], -v[6:7]
	v_fma_f64 v[27:28], v[123:124], s[8:9], v[10:11]
	v_add_f64 v[25:26], v[35:36], v[25:26]
	v_fma_f64 v[10:11], v[123:124], s[8:9], -v[10:11]
	v_add_f64 v[6:7], v[35:36], v[6:7]
	v_add_f64 v[25:26], v[27:28], v[25:26]
	v_mul_f64 v[27:28], v[127:128], s[36:37]
	v_add_f64 v[6:7], v[10:11], v[6:7]
	v_fma_f64 v[53:54], v[129:130], s[6:7], -v[27:28]
	v_fma_f64 v[10:11], v[129:130], s[6:7], v[27:28]
	v_add_f64 v[53:54], v[33:34], v[53:54]
	v_add_f64 v[10:11], v[33:34], v[10:11]
	;; [unrolled: 1-line block ×3, first 2 shown]
	v_mul_f64 v[121:122], v[139:140], s[30:31]
	v_fma_f64 v[127:128], v[141:142], s[16:17], v[121:122]
	v_add_f64 v[25:26], v[127:128], v[25:26]
	v_mul_f64 v[127:128], v[145:146], s[30:31]
	v_fma_f64 v[133:134], v[147:148], s[16:17], -v[127:128]
	v_add_f64 v[53:54], v[133:134], v[53:54]
	v_mul_f64 v[133:134], v[151:152], s[38:39]
	v_fma_f64 v[139:140], v[153:154], s[4:5], v[133:134]
	v_add_f64 v[25:26], v[139:140], v[25:26]
	v_mul_f64 v[139:140], v[157:158], s[38:39]
	v_fma_f64 v[145:146], v[159:160], s[4:5], -v[139:140]
	v_add_f64 v[53:54], v[145:146], v[53:54]
	;; [unrolled: 6-line block ×3, first 2 shown]
	v_mul_f64 v[157:158], v[175:176], s[34:35]
	v_fma_f64 v[163:164], v[177:178], s[20:21], -v[157:158]
	v_add_f64 v[53:54], v[163:164], v[53:54]
	v_mul_f64 v[163:164], v[181:182], s[34:35]
	v_fma_f64 v[169:170], v[183:184], s[20:21], v[163:164]
	v_add_f64 v[25:26], v[169:170], v[25:26]
	v_mul_f64 v[169:170], v[53:54], v[55:56]
	v_mul_f64 v[175:176], v[25:26], v[55:56]
	v_fma_f64 v[55:56], v[25:26], v[29:30], -v[169:170]
	v_fma_f64 v[25:26], v[135:136], s[8:9], v[39:40]
	v_fma_f64 v[53:54], v[53:54], v[29:30], v[175:176]
	v_add_f64 v[10:11], v[25:26], v[10:11]
	v_fma_f64 v[25:26], v[141:142], s[16:17], -v[121:122]
	v_add_f64 v[6:7], v[25:26], v[6:7]
	v_fma_f64 v[25:26], v[147:148], s[16:17], v[127:128]
	v_add_f64 v[10:11], v[25:26], v[10:11]
	v_fma_f64 v[25:26], v[153:154], s[4:5], -v[133:134]
	v_add_f64 v[6:7], v[25:26], v[6:7]
	;; [unrolled: 4-line block ×3, first 2 shown]
	v_fma_f64 v[25:26], v[171:172], s[18:19], v[151:152]
	v_add_f64 v[10:11], v[25:26], v[10:11]
	v_fma_f64 v[25:26], v[177:178], s[20:21], v[157:158]
	v_add_f64 v[10:11], v[25:26], v[10:11]
	v_fma_f64 v[25:26], v[183:184], s[20:21], -v[163:164]
	v_add_f64 v[6:7], v[25:26], v[6:7]
	v_mul_f64 v[25:26], v[10:11], v[107:108]
	v_mul_f64 v[29:30], v[6:7], v[107:108]
	v_fma_f64 v[27:28], v[6:7], v[43:44], -v[25:26]
	v_fma_f64 v[6:7], v[117:118], s[16:17], -v[23:24]
	v_fma_f64 v[23:24], v[135:136], s[4:5], v[137:138]
	v_fma_f64 v[25:26], v[10:11], v[43:44], v[29:30]
	v_fma_f64 v[10:11], v[123:124], s[20:21], -v[105:106]
	v_add_f64 v[6:7], v[35:36], v[6:7]
	v_add_f64 v[6:7], v[10:11], v[6:7]
	v_fma_f64 v[10:11], v[129:130], s[16:17], v[19:20]
	v_add_f64 v[19:20], v[35:36], v[101:102]
	v_add_f64 v[6:7], v[12:13], v[6:7]
	;; [unrolled: 1-line block ×5, first 2 shown]
	v_fma_f64 v[13:14], v[117:118], s[4:5], -v[187:188]
	v_fma_f64 v[15:16], v[117:118], s[8:9], -v[119:120]
	v_add_f64 v[19:20], v[19:20], v[67:68]
	v_add_f64 v[8:9], v[8:9], v[10:11]
	v_fma_f64 v[10:11], v[153:154], s[6:7], -v[17:18]
	v_add_f64 v[13:14], v[35:36], v[13:14]
	v_add_f64 v[17:18], v[33:34], v[99:100]
	;; [unrolled: 1-line block ×6, first 2 shown]
	v_fma_f64 v[11:12], v[117:118], s[18:19], -v[235:236]
	v_fma_f64 v[9:10], v[129:130], s[8:9], v[131:132]
	v_add_f64 v[17:18], v[17:18], v[73:74]
	v_add_f64 v[19:20], v[19:20], v[47:48]
	;; [unrolled: 1-line block ×3, first 2 shown]
	v_fma_f64 v[4:5], v[177:178], s[18:19], v[21:22]
	v_add_f64 v[2:3], v[2:3], v[6:7]
	v_add_f64 v[11:12], v[35:36], v[11:12]
	v_fma_f64 v[21:22], v[123:124], s[16:17], -v[237:238]
	v_add_f64 v[9:10], v[33:34], v[9:10]
	v_add_f64 v[17:18], v[17:18], v[63:64]
	;; [unrolled: 1-line block ×4, first 2 shown]
	v_fma_f64 v[4:5], v[183:184], s[18:19], -v[31:32]
	v_add_f64 v[11:12], v[21:22], v[11:12]
	v_fma_f64 v[21:22], v[135:136], s[16:17], v[241:242]
	v_add_f64 v[17:18], v[17:18], v[75:76]
	v_add_f64 v[19:20], v[19:20], v[57:58]
	;; [unrolled: 1-line block ×3, first 2 shown]
	v_fma_f64 v[23:24], v[159:160], s[18:19], v[161:162]
	v_add_f64 v[2:3], v[4:5], v[2:3]
	v_mul_f64 v[4:5], v[0:1], v[111:112]
	v_add_f64 v[17:18], v[17:18], v[45:46]
	v_add_f64 v[19:20], v[19:20], v[61:62]
	v_mul_f64 v[6:7], v[2:3], v[111:112]
	v_fma_f64 v[31:32], v[2:3], v[109:110], -v[4:5]
	v_fma_f64 v[2:3], v[123:124], s[6:7], -v[213:214]
	v_fma_f64 v[4:5], v[135:136], s[6:7], v[217:218]
	v_add_f64 v[17:18], v[17:18], v[77:78]
	v_add_f64 v[19:20], v[19:20], v[71:72]
	v_fma_f64 v[29:30], v[0:1], v[109:110], v[6:7]
	v_fma_f64 v[0:1], v[117:118], s[20:21], -v[211:212]
	v_add_f64 v[17:18], v[17:18], v[69:70]
	v_add_f64 v[0:1], v[35:36], v[0:1]
	v_fma_f64 v[35:36], v[147:148], s[20:21], v[149:150]
	v_add_f64 v[17:18], v[17:18], v[59:60]
	v_add_f64 v[0:1], v[2:3], v[0:1]
	v_fma_f64 v[2:3], v[129:130], s[20:21], v[215:216]
	;; [unrolled: 3-line block ×4, first 2 shown]
	v_add_f64 v[2:3], v[4:5], v[2:3]
	v_fma_f64 v[4:5], v[141:142], s[18:19], -v[219:220]
	v_add_f64 v[9:10], v[35:36], v[9:10]
	v_fma_f64 v[35:36], v[183:184], s[4:5], -v[41:42]
	v_add_f64 v[0:1], v[4:5], v[0:1]
	v_fma_f64 v[4:5], v[147:148], s[18:19], v[221:222]
	v_add_f64 v[9:10], v[23:24], v[9:10]
	v_add_f64 v[2:3], v[4:5], v[2:3]
	v_fma_f64 v[4:5], v[153:154], s[8:9], -v[223:224]
	v_add_f64 v[0:1], v[4:5], v[0:1]
	v_fma_f64 v[4:5], v[159:160], s[8:9], v[225:226]
	v_add_f64 v[2:3], v[4:5], v[2:3]
	v_fma_f64 v[4:5], v[165:166], s[4:5], -v[227:228]
	v_add_f64 v[0:1], v[4:5], v[0:1]
	v_fma_f64 v[4:5], v[171:172], s[4:5], v[229:230]
	v_add_f64 v[2:3], v[4:5], v[2:3]
	v_fma_f64 v[4:5], v[177:178], s[16:17], v[231:232]
	v_add_f64 v[5:6], v[4:5], v[2:3]
	v_fma_f64 v[2:3], v[183:184], s[16:17], -v[233:234]
	v_add_f64 v[0:1], v[2:3], v[0:1]
	v_mul_f64 v[2:3], v[5:6], v[115:116]
	v_mul_f64 v[7:8], v[0:1], v[115:116]
	v_fma_f64 v[3:4], v[0:1], v[113:114], -v[2:3]
	v_mov_b32_e32 v0, 0x1a5
	v_fma_f64 v[1:2], v[5:6], v[113:114], v[7:8]
	v_fma_f64 v[5:6], v[129:130], s[18:19], v[239:240]
	;; [unrolled: 1-line block ×3, first 2 shown]
	v_add_f64 v[5:6], v[33:34], v[5:6]
	v_add_f64 v[7:8], v[33:34], v[7:8]
	v_fma_f64 v[33:34], v[165:166], s[20:21], -v[203:204]
	v_add_f64 v[5:6], v[21:22], v[5:6]
	v_fma_f64 v[21:22], v[123:124], s[18:19], -v[189:190]
	v_add_f64 v[13:14], v[21:22], v[13:14]
	v_fma_f64 v[21:22], v[135:136], s[18:19], v[193:194]
	v_add_f64 v[7:8], v[21:22], v[7:8]
	v_fma_f64 v[21:22], v[141:142], s[8:9], -v[243:244]
	v_add_f64 v[11:12], v[21:22], v[11:12]
	v_fma_f64 v[21:22], v[147:148], s[8:9], v[245:246]
	;; [unrolled: 4-line block ×5, first 2 shown]
	v_add_f64 v[11:12], v[35:36], v[11:12]
	v_add_f64 v[5:6], v[21:22], v[5:6]
	v_fma_f64 v[21:22], v[153:154], s[16:17], -v[199:200]
	v_add_f64 v[13:14], v[21:22], v[13:14]
	v_fma_f64 v[21:22], v[159:160], s[16:17], v[201:202]
	v_add_f64 v[13:14], v[33:34], v[13:14]
	v_add_f64 v[7:8], v[21:22], v[7:8]
	v_fma_f64 v[21:22], v[123:124], s[4:5], -v[125:126]
	v_fma_f64 v[33:34], v[141:142], s[20:21], -v[143:144]
	v_add_f64 v[15:16], v[21:22], v[15:16]
	v_fma_f64 v[21:22], v[171:172], s[20:21], v[205:206]
	v_add_f64 v[15:16], v[33:34], v[15:16]
	v_add_f64 v[7:8], v[21:22], v[7:8]
	v_fma_f64 v[21:22], v[153:154], s[18:19], -v[155:156]
	v_fma_f64 v[33:34], v[177:178], s[8:9], v[207:208]
	v_add_f64 v[15:16], v[21:22], v[15:16]
	s_clause 0x1
	buffer_load_dword v21, off, s[60:63], 0 offset:116
	buffer_load_dword v22, off, s[60:63], 0 offset:120
	v_add_f64 v[7:8], v[33:34], v[7:8]
	v_fma_f64 v[33:34], v[165:166], s[16:17], -v[167:168]
	v_add_f64 v[15:16], v[33:34], v[15:16]
	s_waitcnt vmcnt(0)
	v_add_f64 v[17:18], v[17:18], v[21:22]
	s_clause 0x3
	buffer_load_dword v21, off, s[60:63], 0 offset:108
	buffer_load_dword v22, off, s[60:63], 0 offset:112
	;; [unrolled: 1-line block ×4, first 2 shown]
	s_waitcnt vmcnt(2)
	v_add_f64 v[19:20], v[19:20], v[21:22]
	s_waitcnt vmcnt(0)
	v_add_f64 v[17:18], v[17:18], v[33:34]
	s_clause 0x1
	buffer_load_dword v33, off, s[60:63], 0 offset:92
	buffer_load_dword v34, off, s[60:63], 0 offset:96
	v_fma_f64 v[21:22], v[183:184], s[8:9], -v[209:210]
	v_add_f64 v[17:18], v[17:18], v[89:90]
	v_add_f64 v[13:14], v[21:22], v[13:14]
	v_fma_f64 v[21:22], v[177:178], s[4:5], v[37:38]
	v_mul_f64 v[37:38], v[97:98], v[9:10]
	s_add_u32 s4, s24, s14
	s_addc_u32 s5, s25, s15
	v_mul_f64 v[23:24], v[13:14], v[103:104]
	v_add_f64 v[5:6], v[21:22], v[5:6]
	v_mul_f64 v[21:22], v[7:8], v[103:104]
	v_fma_f64 v[35:36], v[13:14], v[95:96], -v[21:22]
	s_waitcnt vmcnt(0)
	v_add_f64 v[19:20], v[19:20], v[33:34]
	v_fma_f64 v[33:34], v[183:184], s[6:7], -v[185:186]
	v_add_f64 v[19:20], v[19:20], v[91:92]
	v_add_f64 v[15:16], v[33:34], v[15:16]
	s_clause 0x3
	buffer_load_dword v33, off, s[60:63], 0 offset:284
	buffer_load_dword v13, off, s[60:63], 0 offset:84
	;; [unrolled: 1-line block ×3, first 2 shown]
	buffer_load_dword v45, off, s[60:63], 0
	s_load_dwordx2 s[4:5], s[4:5], 0x0
	v_mul_f64 v[39:40], v[97:98], v[15:16]
	v_fma_f64 v[43:44], v[93:94], v[15:16], -v[37:38]
	v_mul_f64 v[15:16], v[5:6], v[81:82]
	v_mul_f64 v[37:38], v[11:12], v[81:82]
	v_fma_f64 v[41:42], v[93:94], v[9:10], v[39:40]
	s_waitcnt vmcnt(3)
	v_mul_u32_u24_sdwa v0, v33, v0 dst_sel:DWORD dst_unused:UNUSED_PAD src0_sel:WORD_0 src1_sel:DWORD
	v_fma_f64 v[33:34], v[7:8], v[95:96], v[23:24]
	s_waitcnt vmcnt(0)
	v_mad_u64_u32 v[21:22], null, s2, v45, 0
	v_mul_f64 v[7:8], v[17:18], v[13:14]
	v_lshrrev_b32_e32 v0, 16, v0
	v_mul_f64 v[13:14], v[19:20], v[13:14]
	s_waitcnt lgkmcnt(0)
	s_mul_i32 s2, s5, s28
	v_mul_lo_u16 v0, 0xa9, v0
	v_mov_b32_e32 v9, v22
	v_add_nc_u32_sdwa v0, v255, v0 dst_sel:DWORD dst_unused:UNUSED_PAD src0_sel:DWORD src1_sel:WORD_0
	v_mad_u64_u32 v[23:24], null, s0, v0, 0
	v_mov_b32_e32 v10, v24
	v_mad_u64_u32 v[39:40], null, s3, v45, v[9:10]
	s_clause 0x3
	buffer_load_dword v45, off, s[60:63], 0 offset:76
	buffer_load_dword v46, off, s[60:63], 0 offset:80
	;; [unrolled: 1-line block ×4, first 2 shown]
	s_mul_hi_u32 s3, s4, s28
	s_add_i32 s3, s3, s2
	s_mul_i32 s2, s4, s28
	v_mov_b32_e32 v22, v39
	s_lshl_b64 s[2:3], s[2:3], 4
	s_add_u32 s4, s10, s2
	s_addc_u32 s5, s11, s3
	s_lshl_b64 s[2:3], s[26:27], 4
	s_add_u32 s2, s4, s2
	s_addc_u32 s3, s5, s3
	s_waitcnt vmcnt(2)
	v_fma_f64 v[47:48], v[19:20], v[45:46], -v[7:8]
	v_fma_f64 v[45:46], v[17:18], v[45:46], v[13:14]
	v_add_nc_u32_e32 v17, 13, v0
	v_mad_u64_u32 v[7:8], null, s1, v0, v[10:11]
	v_add_nc_u32_e32 v20, 26, v0
	s_waitcnt vmcnt(0)
	v_fma_f64 v[51:52], v[11:12], v[49:50], -v[15:16]
	v_mad_u64_u32 v[8:9], null, s0, v17, 0
	v_fma_f64 v[49:50], v[5:6], v[49:50], v[37:38]
	v_mad_u64_u32 v[13:14], null, s0, v20, 0
	v_mov_b32_e32 v24, v7
	v_add_nc_u32_e32 v15, 0x5b, v0
	v_add_nc_u32_e32 v16, 0x68, v0
	v_mov_b32_e32 v7, v9
	v_lshlrev_b64 v[9:10], 4, v[21:22]
	v_mad_u64_u32 v[17:18], null, s1, v17, v[7:8]
	v_mov_b32_e32 v7, v14
	v_add_co_u32 v39, vcc_lo, s2, v9
	v_add_co_ci_u32_e32 v40, vcc_lo, s3, v10, vcc_lo
	v_mad_u64_u32 v[20:21], null, s1, v20, v[7:8]
	v_mov_b32_e32 v9, v17
	v_add_nc_u32_e32 v21, 39, v0
	v_lshlrev_b64 v[18:19], 4, v[23:24]
	v_add_nc_u32_e32 v23, 52, v0
	v_lshlrev_b64 v[7:8], 4, v[8:9]
	v_mad_u64_u32 v[9:10], null, s0, v21, 0
	v_add_co_u32 v17, vcc_lo, v39, v18
	v_mov_b32_e32 v14, v20
	v_add_co_ci_u32_e32 v18, vcc_lo, v40, v19, vcc_lo
	v_mad_u64_u32 v[19:20], null, s0, v23, 0
	v_mad_u64_u32 v[21:22], null, s1, v21, v[10:11]
	v_lshlrev_b64 v[13:14], 4, v[13:14]
	v_add_co_u32 v7, vcc_lo, v39, v7
	v_add_co_ci_u32_e32 v8, vcc_lo, v40, v8, vcc_lo
	v_mad_u64_u32 v[11:12], null, s1, v23, v[20:21]
	v_add_co_u32 v13, vcc_lo, v39, v13
	v_mov_b32_e32 v10, v21
	v_add_co_ci_u32_e32 v14, vcc_lo, v40, v14, vcc_lo
	global_store_dwordx4 v[17:18], v[45:48], off
	global_store_dwordx4 v[7:8], v[41:44], off
	global_store_dwordx4 v[13:14], v[33:36], off
	v_lshlrev_b64 v[5:6], 4, v[9:10]
	v_add_nc_u32_e32 v13, 0x41, v0
	v_mov_b32_e32 v20, v11
	v_add_nc_u32_e32 v14, 0x4e, v0
	v_mad_u64_u32 v[7:8], null, s0, v13, 0
	v_add_co_u32 v5, vcc_lo, v39, v5
	v_lshlrev_b64 v[9:10], 4, v[19:20]
	v_add_co_ci_u32_e32 v6, vcc_lo, v40, v6, vcc_lo
	v_mad_u64_u32 v[11:12], null, s0, v14, 0
	global_store_dwordx4 v[5:6], v[1:4], off
	v_mov_b32_e32 v1, v8
	v_add_co_u32 v2, vcc_lo, v39, v9
	v_add_co_ci_u32_e32 v3, vcc_lo, v40, v10, vcc_lo
	v_mad_u64_u32 v[9:10], null, s0, v15, 0
	v_mad_u64_u32 v[5:6], null, s1, v13, v[1:2]
	v_mov_b32_e32 v4, v12
	global_store_dwordx4 v[2:3], v[49:52], off
	v_mov_b32_e32 v1, v10
	v_mad_u64_u32 v[12:13], null, s1, v14, v[4:5]
	v_mov_b32_e32 v8, v5
	v_mad_u64_u32 v[4:5], null, s0, v16, 0
	v_mad_u64_u32 v[13:14], null, s1, v15, v[1:2]
	v_lshlrev_b64 v[6:7], 4, v[7:8]
	v_lshlrev_b64 v[1:2], 4, v[11:12]
	v_add_nc_u32_e32 v12, 0x82, v0
	v_add_nc_u32_e32 v14, 0x8f, v0
	v_mov_b32_e32 v3, v5
	v_add_nc_u32_e32 v15, 0x9c, v0
	v_add_co_u32 v5, vcc_lo, v39, v6
	v_add_co_ci_u32_e32 v6, vcc_lo, v40, v7, vcc_lo
	v_mad_u64_u32 v[7:8], null, s1, v16, v[3:4]
	v_mov_b32_e32 v10, v13
	v_add_co_u32 v1, vcc_lo, v39, v1
	v_add_co_ci_u32_e32 v2, vcc_lo, v40, v2, vcc_lo
	v_lshlrev_b64 v[8:9], 4, v[9:10]
	v_add_nc_u32_e32 v10, 0x75, v0
	global_store_dwordx4 v[5:6], v[29:32], off
	v_mov_b32_e32 v5, v7
	global_store_dwordx4 v[1:2], v[25:28], off
	v_mad_u64_u32 v[1:2], null, s0, v10, 0
	v_add_co_u32 v6, vcc_lo, v39, v8
	v_lshlrev_b64 v[3:4], 4, v[4:5]
	v_add_co_ci_u32_e32 v7, vcc_lo, v40, v9, vcc_lo
	v_mad_u64_u32 v[8:9], null, s0, v12, 0
	global_store_dwordx4 v[6:7], v[53:56], off
	v_mad_u64_u32 v[5:6], null, s1, v10, v[2:3]
	v_mad_u64_u32 v[6:7], null, s0, v14, 0
	v_mov_b32_e32 v2, v9
	v_add_co_u32 v3, vcc_lo, v39, v3
	v_mad_u64_u32 v[10:11], null, s0, v15, 0
	v_add_co_ci_u32_e32 v4, vcc_lo, v40, v4, vcc_lo
	v_mad_u64_u32 v[12:13], null, s1, v12, v[2:3]
	v_mov_b32_e32 v0, v7
	v_mov_b32_e32 v2, v5
	global_store_dwordx4 v[3:4], v[85:88], off
	v_mad_u64_u32 v[3:4], null, s1, v14, v[0:1]
	v_lshlrev_b64 v[1:2], 4, v[1:2]
	v_mov_b32_e32 v0, v11
	v_mov_b32_e32 v9, v12
	v_mad_u64_u32 v[4:5], null, s1, v15, v[0:1]
	v_lshlrev_b64 v[8:9], 4, v[8:9]
	v_mov_b32_e32 v7, v3
	v_add_co_u32 v0, vcc_lo, v39, v1
	v_add_co_ci_u32_e32 v1, vcc_lo, v40, v2, vcc_lo
	v_mov_b32_e32 v11, v4
	v_add_co_u32 v4, vcc_lo, v39, v8
	v_lshlrev_b64 v[2:3], 4, v[6:7]
	v_add_co_ci_u32_e32 v5, vcc_lo, v40, v9, vcc_lo
	v_lshlrev_b64 v[6:7], 4, v[10:11]
	s_clause 0x3
	buffer_load_dword v8, off, s[60:63], 0 offset:52
	buffer_load_dword v9, off, s[60:63], 0 offset:56
	;; [unrolled: 1-line block ×4, first 2 shown]
	v_add_co_u32 v2, vcc_lo, v39, v2
	v_add_co_ci_u32_e32 v3, vcc_lo, v40, v3, vcc_lo
	v_add_co_u32 v6, vcc_lo, v39, v6
	v_add_co_ci_u32_e32 v7, vcc_lo, v40, v7, vcc_lo
	s_waitcnt vmcnt(0)
	global_store_dwordx4 v[0:1], v[8:11], off
	s_clause 0x3
	buffer_load_dword v8, off, s[60:63], 0 offset:36
	buffer_load_dword v9, off, s[60:63], 0 offset:40
	buffer_load_dword v10, off, s[60:63], 0 offset:44
	buffer_load_dword v11, off, s[60:63], 0 offset:48
	s_waitcnt vmcnt(0)
	global_store_dwordx4 v[4:5], v[8:11], off
	s_clause 0x3
	buffer_load_dword v8, off, s[60:63], 0 offset:20
	buffer_load_dword v9, off, s[60:63], 0 offset:24
	buffer_load_dword v10, off, s[60:63], 0 offset:28
	buffer_load_dword v11, off, s[60:63], 0 offset:32
	;; [unrolled: 7-line block ×3, first 2 shown]
	s_waitcnt vmcnt(0)
	global_store_dwordx4 v[6:7], v[0:3], off
.LBB0_14:
	s_endpgm
	.section	.rodata,"a",@progbits
	.p2align	6, 0x0
	.amdhsa_kernel fft_rtc_back_len169_factors_13_13_wgs_156_tpt_13_dp_op_CI_CI_sbcc_twdbase8_2step_dirReg_intrinsicRead
		.amdhsa_group_segment_fixed_size 0
		.amdhsa_private_segment_fixed_size 300
		.amdhsa_kernarg_size 112
		.amdhsa_user_sgpr_count 6
		.amdhsa_user_sgpr_private_segment_buffer 1
		.amdhsa_user_sgpr_dispatch_ptr 0
		.amdhsa_user_sgpr_queue_ptr 0
		.amdhsa_user_sgpr_kernarg_segment_ptr 1
		.amdhsa_user_sgpr_dispatch_id 0
		.amdhsa_user_sgpr_flat_scratch_init 0
		.amdhsa_user_sgpr_private_segment_size 0
		.amdhsa_wavefront_size32 1
		.amdhsa_uses_dynamic_stack 0
		.amdhsa_system_sgpr_private_segment_wavefront_offset 1
		.amdhsa_system_sgpr_workgroup_id_x 1
		.amdhsa_system_sgpr_workgroup_id_y 0
		.amdhsa_system_sgpr_workgroup_id_z 0
		.amdhsa_system_sgpr_workgroup_info 0
		.amdhsa_system_vgpr_workitem_id 0
		.amdhsa_next_free_vgpr 256
		.amdhsa_next_free_sgpr 64
		.amdhsa_reserve_vcc 1
		.amdhsa_reserve_flat_scratch 0
		.amdhsa_float_round_mode_32 0
		.amdhsa_float_round_mode_16_64 0
		.amdhsa_float_denorm_mode_32 3
		.amdhsa_float_denorm_mode_16_64 3
		.amdhsa_dx10_clamp 1
		.amdhsa_ieee_mode 1
		.amdhsa_fp16_overflow 0
		.amdhsa_workgroup_processor_mode 1
		.amdhsa_memory_ordered 1
		.amdhsa_forward_progress 0
		.amdhsa_shared_vgpr_count 0
		.amdhsa_exception_fp_ieee_invalid_op 0
		.amdhsa_exception_fp_denorm_src 0
		.amdhsa_exception_fp_ieee_div_zero 0
		.amdhsa_exception_fp_ieee_overflow 0
		.amdhsa_exception_fp_ieee_underflow 0
		.amdhsa_exception_fp_ieee_inexact 0
		.amdhsa_exception_int_div_zero 0
	.end_amdhsa_kernel
	.text
.Lfunc_end0:
	.size	fft_rtc_back_len169_factors_13_13_wgs_156_tpt_13_dp_op_CI_CI_sbcc_twdbase8_2step_dirReg_intrinsicRead, .Lfunc_end0-fft_rtc_back_len169_factors_13_13_wgs_156_tpt_13_dp_op_CI_CI_sbcc_twdbase8_2step_dirReg_intrinsicRead
                                        ; -- End function
	.section	.AMDGPU.csdata,"",@progbits
; Kernel info:
; codeLenInByte = 14360
; NumSgprs: 66
; NumVgprs: 256
; ScratchSize: 300
; MemoryBound: 0
; FloatMode: 240
; IeeeMode: 1
; LDSByteSize: 0 bytes/workgroup (compile time only)
; SGPRBlocks: 8
; VGPRBlocks: 31
; NumSGPRsForWavesPerEU: 66
; NumVGPRsForWavesPerEU: 256
; Occupancy: 4
; WaveLimiterHint : 1
; COMPUTE_PGM_RSRC2:SCRATCH_EN: 1
; COMPUTE_PGM_RSRC2:USER_SGPR: 6
; COMPUTE_PGM_RSRC2:TRAP_HANDLER: 0
; COMPUTE_PGM_RSRC2:TGID_X_EN: 1
; COMPUTE_PGM_RSRC2:TGID_Y_EN: 0
; COMPUTE_PGM_RSRC2:TGID_Z_EN: 0
; COMPUTE_PGM_RSRC2:TIDIG_COMP_CNT: 0
	.text
	.p2alignl 6, 3214868480
	.fill 48, 4, 3214868480
	.type	__hip_cuid_3c30e0cb5f3370c1,@object ; @__hip_cuid_3c30e0cb5f3370c1
	.section	.bss,"aw",@nobits
	.globl	__hip_cuid_3c30e0cb5f3370c1
__hip_cuid_3c30e0cb5f3370c1:
	.byte	0                               ; 0x0
	.size	__hip_cuid_3c30e0cb5f3370c1, 1

	.ident	"AMD clang version 19.0.0git (https://github.com/RadeonOpenCompute/llvm-project roc-6.4.0 25133 c7fe45cf4b819c5991fe208aaa96edf142730f1d)"
	.section	".note.GNU-stack","",@progbits
	.addrsig
	.addrsig_sym __hip_cuid_3c30e0cb5f3370c1
	.amdgpu_metadata
---
amdhsa.kernels:
  - .args:
      - .actual_access:  read_only
        .address_space:  global
        .offset:         0
        .size:           8
        .value_kind:     global_buffer
      - .address_space:  global
        .offset:         8
        .size:           8
        .value_kind:     global_buffer
      - .offset:         16
        .size:           8
        .value_kind:     by_value
      - .actual_access:  read_only
        .address_space:  global
        .offset:         24
        .size:           8
        .value_kind:     global_buffer
      - .actual_access:  read_only
        .address_space:  global
        .offset:         32
        .size:           8
        .value_kind:     global_buffer
      - .actual_access:  read_only
        .address_space:  global
        .offset:         40
        .size:           8
        .value_kind:     global_buffer
      - .offset:         48
        .size:           8
        .value_kind:     by_value
      - .actual_access:  read_only
        .address_space:  global
        .offset:         56
        .size:           8
        .value_kind:     global_buffer
      - .actual_access:  read_only
        .address_space:  global
        .offset:         64
        .size:           8
        .value_kind:     global_buffer
      - .offset:         72
        .size:           4
        .value_kind:     by_value
      - .actual_access:  read_only
        .address_space:  global
        .offset:         80
        .size:           8
        .value_kind:     global_buffer
      - .actual_access:  read_only
        .address_space:  global
        .offset:         88
        .size:           8
        .value_kind:     global_buffer
      - .address_space:  global
        .offset:         96
        .size:           8
        .value_kind:     global_buffer
      - .actual_access:  write_only
        .address_space:  global
        .offset:         104
        .size:           8
        .value_kind:     global_buffer
    .group_segment_fixed_size: 0
    .kernarg_segment_align: 8
    .kernarg_segment_size: 112
    .language:       OpenCL C
    .language_version:
      - 2
      - 0
    .max_flat_workgroup_size: 156
    .name:           fft_rtc_back_len169_factors_13_13_wgs_156_tpt_13_dp_op_CI_CI_sbcc_twdbase8_2step_dirReg_intrinsicRead
    .private_segment_fixed_size: 300
    .sgpr_count:     66
    .sgpr_spill_count: 0
    .symbol:         fft_rtc_back_len169_factors_13_13_wgs_156_tpt_13_dp_op_CI_CI_sbcc_twdbase8_2step_dirReg_intrinsicRead.kd
    .uniform_work_group_size: 1
    .uses_dynamic_stack: false
    .vgpr_count:     256
    .vgpr_spill_count: 96
    .wavefront_size: 32
    .workgroup_processor_mode: 1
amdhsa.target:   amdgcn-amd-amdhsa--gfx1030
amdhsa.version:
  - 1
  - 2
...

	.end_amdgpu_metadata
